;; amdgpu-corpus repo=ROCm/rocFFT kind=compiled arch=gfx1201 opt=O3
	.text
	.amdgcn_target "amdgcn-amd-amdhsa--gfx1201"
	.amdhsa_code_object_version 6
	.protected	bluestein_single_fwd_len1734_dim1_half_op_CI_CI ; -- Begin function bluestein_single_fwd_len1734_dim1_half_op_CI_CI
	.globl	bluestein_single_fwd_len1734_dim1_half_op_CI_CI
	.p2align	8
	.type	bluestein_single_fwd_len1734_dim1_half_op_CI_CI,@function
bluestein_single_fwd_len1734_dim1_half_op_CI_CI: ; @bluestein_single_fwd_len1734_dim1_half_op_CI_CI
; %bb.0:
	s_load_b128 s[16:19], s[0:1], 0x28
	v_mul_u32_u24_e32 v1, 0x283, v0
	s_mov_b32 s2, exec_lo
	v_mov_b32_e32 v29, 0
	s_delay_alu instid0(VALU_DEP_2) | instskip(NEXT) | instid1(VALU_DEP_1)
	v_lshrrev_b32_e32 v1, 16, v1
	v_add_nc_u32_e32 v28, ttmp9, v1
	s_wait_kmcnt 0x0
	s_delay_alu instid0(VALU_DEP_1)
	v_cmpx_gt_u64_e64 s[16:17], v[28:29]
	s_cbranch_execz .LBB0_10
; %bb.1:
	s_clause 0x1
	s_load_b128 s[4:7], s[0:1], 0x18
	s_load_b128 s[8:11], s[0:1], 0x0
	v_mul_lo_u16 v1, 0x66, v1
	s_delay_alu instid0(VALU_DEP_1) | instskip(NEXT) | instid1(VALU_DEP_1)
	v_sub_nc_u16 v16, v0, v1
	v_and_b32_e32 v71, 0xffff, v16
	s_delay_alu instid0(VALU_DEP_1)
	v_lshlrev_b32_e32 v43, 2, v71
	s_wait_kmcnt 0x0
	s_load_b128 s[12:15], s[4:5], 0x0
	s_clause 0xf
	global_load_b32 v75, v43, s[8:9]
	global_load_b32 v74, v43, s[8:9] offset:408
	global_load_b32 v73, v43, s[8:9] offset:816
	;; [unrolled: 1-line block ×15, first 2 shown]
	v_add_nc_u32_e32 v23, 0x200, v43
	v_add_nc_u32_e32 v19, 0x800, v43
	;; [unrolled: 1-line block ×7, first 2 shown]
	s_wait_kmcnt 0x0
	v_mad_co_u64_u32 v[0:1], null, s14, v28, 0
	v_mad_co_u64_u32 v[2:3], null, s12, v71, 0
	s_mul_u64 s[2:3], s[12:13], 0x198
	s_delay_alu instid0(VALU_DEP_1) | instskip(NEXT) | instid1(VALU_DEP_1)
	v_mad_co_u64_u32 v[4:5], null, s15, v28, v[1:2]
	v_mad_co_u64_u32 v[5:6], null, s13, v71, v[3:4]
	v_mov_b32_e32 v1, v4
	s_delay_alu instid0(VALU_DEP_1) | instskip(NEXT) | instid1(VALU_DEP_3)
	v_lshlrev_b64_e32 v[0:1], 2, v[0:1]
	v_mov_b32_e32 v3, v5
	s_delay_alu instid0(VALU_DEP_2) | instskip(NEXT) | instid1(VALU_DEP_2)
	v_add_co_u32 v0, vcc_lo, s18, v0
	v_lshlrev_b64_e32 v[2:3], 2, v[2:3]
	s_delay_alu instid0(VALU_DEP_4) | instskip(NEXT) | instid1(VALU_DEP_2)
	v_add_co_ci_u32_e32 v1, vcc_lo, s19, v1, vcc_lo
	v_add_co_u32 v0, vcc_lo, v0, v2
	s_wait_alu 0xfffd
	s_delay_alu instid0(VALU_DEP_2) | instskip(NEXT) | instid1(VALU_DEP_2)
	v_add_co_ci_u32_e32 v1, vcc_lo, v1, v3, vcc_lo
	v_add_co_u32 v2, vcc_lo, v0, s2
	s_wait_alu 0xfffd
	s_delay_alu instid0(VALU_DEP_2)
	v_add_co_ci_u32_e32 v3, vcc_lo, s3, v1, vcc_lo
	global_load_b32 v4, v[0:1], off
	v_add_co_u32 v0, vcc_lo, v2, s2
	s_wait_alu 0xfffd
	v_add_co_ci_u32_e32 v1, vcc_lo, s3, v3, vcc_lo
	global_load_b32 v5, v[2:3], off
	global_load_b32 v44, v43, s[8:9] offset:6528
	global_load_b32 v6, v[0:1], off
	v_add_co_u32 v0, vcc_lo, v0, s2
	s_wait_alu 0xfffd
	v_add_co_ci_u32_e32 v1, vcc_lo, s3, v1, vcc_lo
	s_delay_alu instid0(VALU_DEP_2) | instskip(SKIP_1) | instid1(VALU_DEP_2)
	v_add_co_u32 v2, vcc_lo, v0, s2
	s_wait_alu 0xfffd
	v_add_co_ci_u32_e32 v3, vcc_lo, s3, v1, vcc_lo
	global_load_b32 v7, v[0:1], off
	v_add_co_u32 v0, vcc_lo, v2, s2
	s_wait_alu 0xfffd
	v_add_co_ci_u32_e32 v1, vcc_lo, s3, v3, vcc_lo
	global_load_b32 v8, v[2:3], off
	global_load_b32 v9, v[0:1], off
	v_add_co_u32 v0, vcc_lo, v0, s2
	s_wait_alu 0xfffd
	v_add_co_ci_u32_e32 v1, vcc_lo, s3, v1, vcc_lo
	s_delay_alu instid0(VALU_DEP_2) | instskip(SKIP_1) | instid1(VALU_DEP_2)
	v_add_co_u32 v2, vcc_lo, v0, s2
	s_wait_alu 0xfffd
	v_add_co_ci_u32_e32 v3, vcc_lo, s3, v1, vcc_lo
	global_load_b32 v10, v[0:1], off
	global_load_b32 v11, v[2:3], off
	v_add_co_u32 v0, vcc_lo, v2, s2
	s_wait_alu 0xfffd
	v_add_co_ci_u32_e32 v1, vcc_lo, s3, v3, vcc_lo
	s_delay_alu instid0(VALU_DEP_2) | instskip(SKIP_1) | instid1(VALU_DEP_2)
	v_add_co_u32 v2, vcc_lo, v0, s2
	s_wait_alu 0xfffd
	v_add_co_ci_u32_e32 v3, vcc_lo, s3, v1, vcc_lo
	global_load_b32 v12, v[0:1], off
	v_add_co_u32 v0, vcc_lo, v2, s2
	s_wait_alu 0xfffd
	v_add_co_ci_u32_e32 v1, vcc_lo, s3, v3, vcc_lo
	global_load_b32 v13, v[2:3], off
	global_load_b32 v14, v[0:1], off
	v_add_co_u32 v0, vcc_lo, v0, s2
	s_wait_alu 0xfffd
	v_add_co_ci_u32_e32 v1, vcc_lo, s3, v1, vcc_lo
	s_delay_alu instid0(VALU_DEP_2) | instskip(SKIP_1) | instid1(VALU_DEP_2)
	v_add_co_u32 v2, vcc_lo, v0, s2
	s_wait_alu 0xfffd
	v_add_co_ci_u32_e32 v3, vcc_lo, s3, v1, vcc_lo
	global_load_b32 v15, v[0:1], off
	v_add_co_u32 v0, vcc_lo, v2, s2
	s_wait_alu 0xfffd
	v_add_co_ci_u32_e32 v1, vcc_lo, s3, v3, vcc_lo
	global_load_b32 v24, v[2:3], off
	;; [unrolled: 4-line block ×5, first 2 shown]
	global_load_b32 v1, v[2:3], off
	s_load_b128 s[4:7], s[6:7], 0x0
	s_load_b64 s[2:3], s[0:1], 0x38
	v_cmp_gt_u16_e32 vcc_lo, 0x55, v16
	s_wait_loadcnt 0x21
	v_lshrrev_b32_e32 v78, 16, v75
	s_wait_loadcnt 0x20
	v_lshrrev_b32_e32 v77, 16, v74
	;; [unrolled: 2-line block ×17, first 2 shown]
	v_mul_f16_e32 v3, v78, v4
	s_wait_loadcnt 0x10
	v_lshrrev_b32_e32 v29, 16, v5
	s_delay_alu instid0(VALU_DEP_3)
	v_mul_f16_e32 v27, v78, v2
	v_mul_f16_e32 v30, v77, v5
	v_fma_f16 v2, v75, v2, -v3
	s_wait_loadcnt 0xf
	v_lshrrev_b32_e32 v46, 16, v44
	v_mul_f16_e32 v3, v77, v29
	v_fmac_f16_e32 v27, v75, v4
	s_wait_loadcnt 0xe
	v_lshrrev_b32_e32 v4, 16, v6
	v_fma_f16 v29, v74, v29, -v30
	v_mul_f16_e32 v30, v76, v6
	v_fmac_f16_e32 v3, v74, v5
	v_pack_b32_f16 v2, v27, v2
	v_mul_f16_e32 v5, v76, v4
	s_wait_loadcnt 0xd
	v_lshrrev_b32_e32 v27, 16, v7
	v_mul_f16_e32 v31, v72, v7
	v_fma_f16 v4, v73, v4, -v30
	v_pack_b32_f16 v3, v3, v29
	v_fmac_f16_e32 v5, v73, v6
	v_mul_f16_e32 v6, v72, v27
	s_wait_loadcnt 0xc
	v_lshrrev_b32_e32 v29, 16, v8
	v_fma_f16 v27, v69, v27, -v31
	v_mul_f16_e32 v30, v70, v8
	ds_store_2addr_b32 v43, v2, v3 offset1:102
	v_pack_b32_f16 v2, v5, v4
	v_fmac_f16_e32 v6, v69, v7
	v_mul_f16_e32 v3, v70, v29
	s_wait_loadcnt 0xb
	v_lshrrev_b32_e32 v4, 16, v9
	v_mul_f16_e32 v5, v68, v9
	v_fma_f16 v7, v67, v29, -v30
	v_pack_b32_f16 v6, v6, v27
	v_fmac_f16_e32 v3, v67, v8
	v_mul_f16_e32 v8, v68, v4
	v_fma_f16 v4, v65, v4, -v5
	s_wait_loadcnt 0xa
	v_lshrrev_b32_e32 v5, 16, v10
	v_mul_f16_e32 v27, v66, v10
	ds_store_2addr_b32 v23, v2, v6 offset0:76 offset1:178
	v_pack_b32_f16 v2, v3, v7
	v_fmac_f16_e32 v8, v65, v9
	v_mul_f16_e32 v3, v66, v5
	s_wait_loadcnt 0x9
	v_lshrrev_b32_e32 v6, 16, v11
	v_mul_f16_e32 v7, v64, v11
	v_fma_f16 v5, v63, v5, -v27
	v_pack_b32_f16 v4, v8, v4
	v_fmac_f16_e32 v3, v63, v10
	v_mul_f16_e32 v8, v64, v6
	v_fma_f16 v6, v61, v6, -v7
	s_wait_loadcnt 0x8
	v_lshrrev_b32_e32 v7, 16, v12
	v_mul_f16_e32 v9, v62, v12
	ds_store_2addr_b32 v18, v2, v4 offset0:152 offset1:254
	;; [unrolled: 15-line block ×3, first 2 shown]
	v_pack_b32_f16 v2, v3, v7
	v_fmac_f16_e32 v8, v58, v13
	v_mul_f16_e32 v3, v57, v5
	s_wait_loadcnt 0x5
	v_lshrrev_b32_e32 v6, 16, v15
	v_mul_f16_e32 v7, v56, v15
	v_fma_f16 v5, v55, v5, -v9
	v_pack_b32_f16 v4, v8, v4
	v_fmac_f16_e32 v3, v55, v14
	v_mul_f16_e32 v8, v56, v6
	v_fma_f16 v6, v54, v6, -v7
	s_wait_loadcnt 0x4
	v_lshrrev_b32_e32 v7, 16, v24
	v_mul_f16_e32 v9, v53, v24
	v_pack_b32_f16 v3, v3, v5
	v_fmac_f16_e32 v8, v54, v15
	s_wait_loadcnt 0x3
	v_lshrrev_b32_e32 v5, 16, v25
	v_mul_f16_e32 v10, v53, v7
	v_fma_f16 v7, v52, v7, -v9
	v_mul_f16_e32 v9, v51, v25
	v_pack_b32_f16 v6, v8, v6
	v_mul_f16_e32 v8, v51, v5
	s_wait_loadcnt 0x2
	v_lshrrev_b32_e32 v11, 16, v26
	s_wait_loadcnt 0x1
	v_lshrrev_b32_e32 v12, 16, v0
	v_fma_f16 v5, v50, v5, -v9
	v_mul_f16_e32 v9, v49, v26
	s_wait_loadcnt 0x0
	v_lshrrev_b32_e32 v14, 16, v1
	v_mul_f16_e32 v13, v49, v11
	v_mul_f16_e32 v15, v47, v12
	v_fmac_f16_e32 v10, v52, v24
	v_fma_f16 v9, v48, v11, -v9
	v_mul_f16_e32 v11, v47, v0
	v_fmac_f16_e32 v8, v50, v25
	v_mul_f16_e32 v24, v46, v1
	v_mul_f16_e32 v25, v46, v14
	v_fmac_f16_e32 v13, v48, v26
	v_fma_f16 v11, v45, v12, -v11
	v_fmac_f16_e32 v15, v45, v0
	v_fma_f16 v0, v44, v14, -v24
	v_fmac_f16_e32 v25, v44, v1
	v_pack_b32_f16 v1, v10, v7
	v_pack_b32_f16 v5, v8, v5
	;; [unrolled: 1-line block ×5, first 2 shown]
	ds_store_2addr_b32 v17, v2, v4 offset0:48 offset1:150
	ds_store_2addr_b32 v22, v3, v6 offset0:124 offset1:226
	;; [unrolled: 1-line block ×4, first 2 shown]
	ds_store_b32 v43, v0 offset:6528
	global_wb scope:SCOPE_SE
	s_wait_dscnt 0x0
	s_wait_kmcnt 0x0
	s_barrier_signal -1
	s_barrier_wait -1
	global_inv scope:SCOPE_SE
	ds_load_2addr_b32 v[10:11], v43 offset1:102
	ds_load_2addr_b32 v[12:13], v18 offset0:152 offset1:254
	ds_load_2addr_b32 v[8:9], v19 offset0:100 offset1:202
	;; [unrolled: 1-line block ×4, first 2 shown]
	ds_load_b32 v31, v43 offset:6528
	ds_load_2addr_b32 v[14:15], v23 offset0:76 offset1:178
	ds_load_2addr_b32 v[0:1], v17 offset0:48 offset1:150
	;; [unrolled: 1-line block ×3, first 2 shown]
	global_wb scope:SCOPE_SE
	s_wait_dscnt 0x0
	s_barrier_signal -1
	s_barrier_wait -1
	global_inv scope:SCOPE_SE
	v_add_f16_e32 v82, v10, v11
	v_lshrrev_b32_e32 v39, 16, v10
	v_lshrrev_b32_e32 v81, 16, v11
	v_lshrrev_b32_e32 v36, 16, v12
	v_lshrrev_b32_e32 v33, 16, v3
	v_lshrrev_b32_e32 v32, 16, v31
	v_lshrrev_b32_e32 v86, 16, v14
	v_lshrrev_b32_e32 v88, 16, v15
	v_add_f16_e32 v89, v5, v14
	v_sub_f16_e32 v90, v14, v5
	v_add_f16_e32 v14, v82, v14
	v_sub_f16_e32 v82, v81, v32
	v_add_f16_e32 v100, v32, v81
	v_add_f16_e32 v81, v39, v81
	v_lshrrev_b32_e32 v29, 16, v13
	v_add_f16_e32 v14, v14, v15
	v_add_f16_e32 v79, v3, v12
	v_sub_f16_e32 v80, v12, v3
	v_add_f16_e32 v81, v81, v86
	v_add_f16_e32 v119, v33, v36
	v_sub_f16_e32 v121, v36, v33
	v_add_f16_e32 v12, v14, v12
	v_lshrrev_b32_e32 v26, 16, v8
	v_add_f16_e32 v81, v81, v88
	v_lshrrev_b32_e32 v24, 16, v9
	v_add_f16_e32 v37, v7, v8
	v_add_f16_e32 v12, v12, v13
	v_sub_f16_e32 v38, v8, v7
	v_add_f16_e32 v36, v81, v36
	v_add_f16_e32 v42, v31, v11
	;; [unrolled: 1-line block ×4, first 2 shown]
	v_sub_f16_e32 v35, v9, v6
	v_add_f16_e32 v36, v36, v29
	v_sub_f16_e32 v87, v11, v31
	v_lshrrev_b32_e32 v11, 16, v0
	v_add_f16_e32 v8, v8, v9
	v_lshrrev_b32_e32 v83, 16, v1
	v_add_f16_e32 v36, v36, v26
	v_lshrrev_b32_e32 v25, 16, v6
	v_lshrrev_b32_e32 v27, 16, v7
	v_add_f16_e32 v8, v8, v0
	v_lshrrev_b32_e32 v30, 16, v2
	v_add_f16_e32 v9, v36, v24
	v_sub_f16_e32 v92, v15, v4
	v_lshrrev_b32_e32 v85, 16, v4
	v_add_f16_e32 v8, v8, v1
	v_lshrrev_b32_e32 v84, 16, v5
	v_add_f16_e32 v9, v9, v11
	v_add_f16_e32 v40, v2, v13
	v_sub_f16_e32 v41, v13, v2
	v_add_f16_e32 v6, v8, v6
	v_add_f16_e32 v91, v4, v15
	;; [unrolled: 1-line block ×3, first 2 shown]
	v_mul_f16_e32 v93, 0xb5c8, v87
	v_mul_f16_e32 v94, 0xb964, v87
	v_add_f16_e32 v6, v6, v7
	v_mul_f16_e32 v95, 0xbb29, v87
	v_add_f16_e32 v8, v9, v25
	v_mul_f16_e32 v96, 0xbbf7, v87
	v_mul_f16_e32 v97, 0xbbb2, v87
	;; [unrolled: 1-line block ×4, first 2 shown]
	v_add_f16_e32 v7, v8, v27
	v_mul_f16_e32 v87, 0xb1e1, v87
	v_mul_f16_e32 v101, 0xb964, v90
	;; [unrolled: 1-line block ×9, first 2 shown]
	v_add_f16_e32 v108, v84, v86
	v_mul_f16_e32 v109, 0xbb29, v92
	v_mul_f16_e32 v110, 0xba62, v92
	;; [unrolled: 1-line block ×8, first 2 shown]
	v_add_f16_e32 v116, v85, v88
	v_sub_f16_e32 v117, v86, v84
	v_mul_f16_e32 v15, 0xb5c8, v82
	v_mul_f16_e32 v123, 0xb964, v82
	;; [unrolled: 1-line block ×3, first 2 shown]
	v_add_f16_e32 v2, v6, v2
	v_add_f16_e32 v6, v7, v30
	v_sub_f16_e32 v118, v88, v85
	v_mul_f16_e32 v125, 0xbbf7, v82
	v_mul_f16_e32 v126, 0xbbb2, v82
	;; [unrolled: 1-line block ×3, first 2 shown]
	v_mul_f16_e64 v128, 0xb836, v82
	v_mul_f16_e32 v82, 0xb1e1, v82
	v_fma_f16 v129, 0x3b76, v100, v93
	v_fma_f16 v93, v100, 0x3b76, -v93
	v_fma_f16 v130, 0x39e9, v100, v94
	v_fma_f16 v94, v100, 0x39e9, -v94
	;; [unrolled: 2-line block ×8, first 2 shown]
	v_fmamk_f16 v100, v108, 0x39e9, v101
	v_fma_f16 v101, v108, 0x39e9, -v101
	v_fma_f16 v137, 0x2de8, v108, v102
	v_fma_f16 v102, v108, 0x2de8, -v102
	v_fma_f16 v138, 0xb8d2, v108, v103
	;; [unrolled: 2-line block ×7, first 2 shown]
	v_fma_f16 v90, v108, 0x3b76, -v90
	v_fmamk_f16 v108, v116, 0x3722, v109
	v_fma_f16 v109, v116, 0x3722, -v109
	v_fma_f16 v144, 0xb8d2, v116, v110
	v_fma_f16 v110, v116, 0xb8d2, -v110
	v_fma_f16 v145, 0xbbdd, v116, v111
	;; [unrolled: 2-line block ×7, first 2 shown]
	v_fma_f16 v92, v116, 0xbacd, -v92
	v_mul_f16_e32 v86, 0xb964, v117
	v_mul_f16_e32 v116, 0xbbf7, v117
	v_mul_f16_e64 v151, 0xba62, v117
	v_fma_f16 v14, v42, 0x3b76, -v15
	v_fmac_f16_e32 v15, 0x3b76, v42
	v_fma_f16 v168, v42, 0x39e9, -v123
	v_fmac_f16_e32 v123, 0x39e9, v42
	v_fma_f16 v169, v42, 0x3722, -v124
	v_add_f16_e32 v2, v2, v3
	v_add_f16_e32 v3, v6, v33
	v_mul_f16_e64 v152, 0xb1e1, v117
	v_mul_f16_e64 v153, 0x3836, v117
	;; [unrolled: 1-line block ×4, first 2 shown]
	v_mul_f16_e32 v117, 0x35c8, v117
	v_mul_f16_e64 v157, 0xba62, v118
	v_mul_f16_e64 v158, 0x31e1, v118
	v_fmac_f16_e32 v124, 0x3722, v42
	v_fma_f16 v170, v42, 0x2de8, -v125
	v_fmac_f16_e32 v125, 0x2de8, v42
	v_fma_f16 v171, v42, 0xb461, -v126
	;; [unrolled: 2-line block ×4, first 2 shown]
	v_fmac_f16_e64 v128, 0xbacd, v42
	v_fma_f16 v174, v42, 0xbbdd, -v82
	v_fmac_f16_e32 v82, 0xbbdd, v42
	v_add_f16_e64 v42, v39, v129
	v_add_f16_e32 v93, v39, v93
	v_add_f16_e64 v129, v39, v130
	v_add_f16_e32 v94, v39, v94
	;; [unrolled: 2-line block ×8, first 2 shown]
	v_fma_f16 v87, v89, 0x39e9, -v86
	v_fmac_f16_e32 v86, 0x39e9, v89
	v_fma_f16 v136, v89, 0x2de8, -v116
	v_fmac_f16_e32 v116, 0x2de8, v89
	v_fma_f16 v175, v89, 0xb8d2, -v151
	v_add_f16_e32 v13, v10, v14
	v_add_f16_e32 v14, v10, v15
	v_add_f16_e64 v15, v10, v168
	v_add_f16_e32 v123, v10, v123
	v_add_f16_e64 v168, v10, v169
	v_add_f16_e32 v3, v3, v85
	v_mul_f16_e64 v156, 0xbb29, v118
	v_mul_f16_e64 v167, 0x3bb2, v121
	v_fmac_f16_e64 v151, 0xb8d2, v89
	v_fma_f16 v176, v89, 0xbbdd, -v152
	v_fmac_f16_e64 v152, 0xbbdd, v89
	v_fma_f16 v177, v89, 0xbacd, -v153
	;; [unrolled: 2-line block ×5, first 2 shown]
	v_fmac_f16_e32 v117, 0x3b76, v89
	v_fma_f16 v89, v91, 0xb8d2, -v157
	v_fmac_f16_e64 v157, 0xb8d2, v91
	v_fma_f16 v181, v91, 0xbbdd, -v158
	v_add_f16_e32 v12, v87, v13
	v_add_f16_e32 v13, v86, v14
	v_add_f16_e64 v14, v136, v15
	v_add_f16_e32 v15, v116, v123
	v_add_f16_e64 v81, v175, v168
	v_add_f16_e32 v3, v3, v84
	v_mul_f16_e64 v159, 0x3bb2, v118
	v_mul_f16_e64 v160, 0x3964, v118
	;; [unrolled: 1-line block ×4, first 2 shown]
	v_mul_f16_e32 v118, 0xb836, v118
	v_mul_f16_e64 v164, 0xbbf7, v121
	v_fma_f16 v88, v91, 0x3722, -v156
	v_add_f16_e64 v169, v10, v170
	v_add_f16_e64 v9, v157, v15
	;; [unrolled: 1-line block ×3, first 2 shown]
	v_add_f16_e32 v3, v3, v32
	v_fma_f16 v32, v79, 0xb461, -v167
	v_mul_f16_e64 v165, 0xb1e1, v121
	v_fmac_f16_e64 v156, 0x3722, v91
	v_fmac_f16_e64 v158, 0xbbdd, v91
	v_fma_f16 v182, v91, 0xb461, -v159
	v_fmac_f16_e64 v159, 0xb461, v91
	v_fma_f16 v183, v91, 0x39e9, -v160
	v_fmac_f16_e64 v160, 0x39e9, v91
	v_fma_f16 v184, v91, 0x3b76, -v161
	v_fmac_f16_e64 v161, 0x3b76, v91
	v_fma_f16 v185, v91, 0x2de8, -v162
	v_fmac_f16_e64 v162, 0x2de8, v91
	v_fma_f16 v186, v91, 0xbacd, -v118
	v_fmac_f16_e32 v118, 0xbacd, v91
	v_fma_f16 v91, v79, 0x2de8, -v164
	v_add_f16_e32 v124, v10, v124
	v_add_f16_e32 v125, v10, v125
	v_add_f16_e64 v170, v10, v171
	v_add_f16_e32 v39, v90, v39
	v_add_f16_e64 v87, v176, v169
	v_add_f16_e32 v12, v88, v12
	v_add_f16_e32 v2, v2, v4
	;; [unrolled: 1-line block ×3, first 2 shown]
	v_mul_f16_e32 v32, 0x35c8, v121
	v_mul_f16_e32 v120, 0xbbf7, v80
	;; [unrolled: 1-line block ×3, first 2 shown]
	v_fmac_f16_e64 v164, 0x2de8, v79
	v_fma_f16 v187, v79, 0xbbdd, -v165
	v_add_f16_e32 v126, v10, v126
	v_add_f16_e64 v171, v10, v172
	v_add_f16_e32 v127, v10, v127
	v_add_f16_e64 v172, v10, v173
	v_add_f16_e64 v128, v10, v128
	;; [unrolled: 1-line block ×3, first 2 shown]
	v_add_f16_e32 v10, v10, v82
	v_add_f16_e32 v42, v100, v42
	;; [unrolled: 1-line block ×3, first 2 shown]
	v_add_f16_e64 v93, v137, v129
	v_add_f16_e32 v94, v102, v94
	v_add_f16_e32 v98, v106, v98
	v_add_f16_e64 v86, v151, v124
	v_add_f16_e64 v90, v152, v125
	;; [unrolled: 1-line block ×3, first 2 shown]
	v_add_f16_e32 v39, v92, v39
	v_add_f16_e64 v13, v156, v13
	v_add_f16_e32 v14, v89, v14
	v_add_f16_e64 v8, v182, v87
	v_add_f16_e32 v2, v2, v5
	v_add_f16_e32 v5, v91, v12
	v_fma_f16 v91, v79, 0x3b76, -v32
	v_mul_f16_e32 v92, 0xbb29, v121
	v_fma_f16 v163, 0x2de8, v119, v120
	v_fma_f16 v120, v119, 0x2de8, -v120
	v_fma_f16 v166, 0xbbdd, v119, v122
	v_add_f16_e32 v95, v103, v95
	v_add_f16_e32 v96, v104, v96
	v_add_f16_e32 v10, v117, v10
	v_add_f16_e32 v42, v108, v42
	v_add_f16_e32 v82, v109, v82
	v_add_f16_e64 v93, v144, v93
	v_add_f16_e32 v94, v110, v94
	v_add_f16_e64 v81, v158, v86
	v_add_f16_e64 v86, v159, v90
	;; [unrolled: 1-line block ×5, first 2 shown]
	v_add_f16_e32 v2, v2, v31
	v_fma_f16 v14, v119, 0xbbdd, -v122
	v_mul_f16_e32 v31, 0x3bb2, v80
	v_mul_f16_e32 v85, 0x35c8, v80
	v_add_f16_e32 v8, v91, v8
	v_fmac_f16_e32 v32, 0x3b76, v79
	v_fma_f16 v91, v79, 0x3722, -v92
	v_add_f16_e32 v97, v105, v97
	v_add_f16_e32 v99, v107, v99
	v_add_f16_e64 v107, v153, v126
	v_add_f16_e64 v116, v178, v171
	v_add_f16_e32 v95, v111, v95
	v_add_f16_e32 v96, v112, v96
	;; [unrolled: 1-line block ×3, first 2 shown]
	v_add_f16_e64 v10, v163, v42
	v_add_f16_e32 v42, v120, v82
	v_add_f16_e64 v82, v166, v93
	v_add_f16_e32 v14, v14, v94
	v_fmamk_f16 v84, v119, 0xb461, v31
	v_fma_f16 v31, v119, 0xb461, -v31
	v_fmamk_f16 v93, v119, 0x3b76, v85
	v_fma_f16 v85, v119, 0x3b76, -v85
	v_mul_f16_e32 v94, 0xbb29, v80
	v_add_f16_e32 v32, v32, v86
	v_add_f16_e32 v86, v91, v87
	v_mul_f16_e32 v87, 0xb836, v121
	v_add_f16_e64 v103, v141, v133
	v_add_f16_e64 v123, v154, v127
	v_add_f16_e32 v97, v113, v97
	v_add_f16_e64 v7, v160, v107
	v_add_f16_e64 v88, v184, v116
	v_add_f16_e32 v31, v31, v95
	v_add_f16_e32 v85, v85, v96
	v_fmamk_f16 v91, v119, 0x3722, v94
	v_fmac_f16_e32 v92, 0x3722, v79
	v_fma_f16 v94, v119, 0x3722, -v94
	v_mul_f16_e32 v95, 0xb836, v80
	v_fma_f16 v96, v79, 0xbacd, -v87
	v_add_f16_e64 v125, v155, v128
	v_add_f16_e64 v36, v148, v103
	;; [unrolled: 1-line block ×3, first 2 shown]
	v_add_f16_e32 v7, v92, v7
	v_add_f16_e32 v92, v94, v97
	v_fmamk_f16 v94, v119, 0xbacd, v95
	v_add_f16_e32 v88, v96, v88
	v_fmac_f16_e32 v87, 0xbacd, v79
	v_mul_f16_e32 v96, 0x3a62, v121
	v_add_f16_e64 v104, v142, v134
	v_add_f16_e64 v124, v179, v172
	v_add_f16_e32 v98, v114, v98
	v_add_f16_e64 v33, v162, v125
	v_mul_f16_e32 v97, 0x3a62, v80
	v_add_f16_e32 v36, v94, v36
	v_fma_f16 v94, v119, 0xbacd, -v95
	v_add_f16_e32 v87, v87, v89
	v_fma_f16 v89, v79, 0xb8d2, -v96
	v_fmac_f16_e32 v96, 0xb8d2, v79
	v_add_f16_e64 v126, v180, v173
	v_add_f16_e64 v103, v149, v104
	v_add_f16_e32 v99, v115, v99
	v_add_f16_e64 v6, v185, v124
	v_fmamk_f16 v95, v119, 0xb8d2, v97
	v_add_f16_e32 v94, v94, v98
	v_mul_f16_e32 v98, 0x3964, v121
	v_add_f16_e32 v33, v96, v33
	v_mul_f16_e32 v80, 0x3964, v80
	v_fma_f16 v96, v119, 0xb8d2, -v97
	v_sub_f16_e32 v97, v29, v30
	v_fmac_f16_e64 v165, 0xbbdd, v79
	v_add_f16_e64 v90, v186, v126
	v_fmac_f16_e64 v167, 0xb461, v79
	v_add_f16_e32 v6, v89, v6
	v_add_f16_e32 v89, v95, v103
	v_fma_f16 v95, v79, 0x39e9, -v98
	v_fmac_f16_e32 v98, 0x39e9, v79
	v_fmamk_f16 v79, v119, 0x39e9, v80
	v_fma_f16 v80, v119, 0x39e9, -v80
	v_add_f16_e32 v96, v96, v99
	v_mul_f16_e32 v99, 0xbbb2, v97
	v_add_f16_e32 v29, v30, v29
	v_mul_f16_e32 v30, 0xbbb2, v41
	v_add_f16_e64 v100, v138, v130
	v_add_f16_e32 v90, v95, v90
	v_fma_f16 v95, v40, 0xb461, -v99
	v_add_f16_e32 v4, v98, v4
	v_add_f16_e32 v39, v80, v39
	v_mul_f16_e32 v80, 0x3836, v97
	v_fmamk_f16 v98, v29, 0xb461, v30
	v_fmac_f16_e32 v99, 0xb461, v40
	v_add_f16_e64 v100, v145, v100
	v_add_f16_e64 v9, v165, v9
	v_add_f16_e32 v5, v95, v5
	v_fma_f16 v30, v29, 0xb461, -v30
	v_fma_f16 v95, v40, 0xbacd, -v80
	v_add_f16_e32 v10, v98, v10
	v_mul_f16_e32 v98, 0x3836, v41
	v_add_f16_e32 v12, v99, v12
	v_fmac_f16_e32 v80, 0xbacd, v40
	v_mul_f16_e32 v99, 0x3964, v41
	v_add_f16_e64 v101, v139, v131
	v_add_f16_e32 v84, v84, v100
	v_add_f16_e32 v30, v30, v42
	;; [unrolled: 1-line block ×3, first 2 shown]
	v_mul_f16_e32 v42, 0x3964, v97
	v_fmamk_f16 v95, v29, 0xbacd, v98
	v_fma_f16 v98, v29, 0xbacd, -v98
	v_add_f16_e32 v9, v80, v9
	v_fmamk_f16 v80, v29, 0x39e9, v99
	v_add_f16_e64 v101, v146, v101
	v_add_f16_e64 v81, v167, v81
	v_fma_f16 v100, v40, 0x39e9, -v42
	v_add_f16_e32 v82, v95, v82
	v_add_f16_e32 v14, v98, v14
	v_mul_f16_e32 v95, 0xbb29, v97
	v_fmac_f16_e32 v42, 0x39e9, v40
	v_fma_f16 v98, v29, 0x39e9, -v99
	v_add_f16_e32 v80, v80, v84
	v_mul_f16_e32 v84, 0xbb29, v41
	v_add_f16_e64 v102, v140, v132
	v_add_f16_e32 v93, v93, v101
	v_fma_f16 v99, v40, 0x3722, -v95
	v_add_f16_e32 v42, v42, v81
	v_add_f16_e32 v31, v98, v31
	v_mul_f16_e32 v81, 0xb1e1, v97
	v_fmamk_f16 v98, v29, 0x3722, v84
	v_add_f16_e64 v102, v147, v102
	v_add_f16_e32 v8, v99, v8
	v_fmac_f16_e32 v95, 0x3722, v40
	v_fma_f16 v84, v29, 0x3722, -v84
	v_fma_f16 v99, v40, 0xbbdd, -v81
	v_add_f16_e32 v93, v98, v93
	v_mul_f16_e32 v98, 0xb1e1, v41
	v_add_f16_e32 v91, v91, v102
	v_add_f16_e32 v32, v95, v32
	;; [unrolled: 1-line block ×4, first 2 shown]
	v_mul_f16_e32 v86, 0x3bf7, v97
	v_fmamk_f16 v95, v29, 0xbbdd, v98
	v_fmac_f16_e32 v81, 0xbbdd, v40
	v_fma_f16 v98, v29, 0xbbdd, -v98
	v_mul_f16_e32 v99, 0x3bf7, v41
	v_add_f16_e32 v15, v100, v15
	v_fma_f16 v100, v40, 0x2de8, -v86
	v_add_f16_e32 v91, v95, v91
	v_add_f16_e32 v7, v81, v7
	;; [unrolled: 1-line block ×3, first 2 shown]
	v_fmamk_f16 v92, v29, 0x2de8, v99
	v_fmac_f16_e32 v86, 0x2de8, v40
	v_mul_f16_e32 v95, 0xb5c8, v97
	v_add_f16_e64 v105, v143, v135
	v_mul_f16_e32 v98, 0xb5c8, v41
	v_add_f16_e32 v36, v92, v36
	v_fma_f16 v92, v29, 0x2de8, -v99
	v_add_f16_e32 v86, v86, v87
	v_fma_f16 v87, v40, 0x3b76, -v95
	v_fmac_f16_e32 v95, 0x3b76, v40
	v_add_f16_e64 v104, v150, v105
	v_fmamk_f16 v99, v29, 0x3b76, v98
	v_add_f16_e32 v92, v92, v94
	v_mul_f16_e32 v94, 0xba62, v97
	v_add_f16_e32 v33, v95, v33
	v_mul_f16_e32 v41, 0xba62, v41
	v_fma_f16 v95, v29, 0x3b76, -v98
	v_sub_f16_e32 v97, v26, v27
	v_add_f16_e32 v79, v79, v104
	v_add_f16_e32 v6, v87, v6
	;; [unrolled: 1-line block ×3, first 2 shown]
	v_fma_f16 v89, v40, 0xb8d2, -v94
	v_fmac_f16_e32 v94, 0xb8d2, v40
	v_fmamk_f16 v40, v29, 0xb8d2, v41
	v_fma_f16 v29, v29, 0xb8d2, -v41
	v_add_f16_e32 v41, v95, v96
	v_mul_f16_e32 v95, 0xba62, v97
	v_add_f16_e32 v26, v27, v26
	v_mul_f16_e32 v27, 0xba62, v38
	v_add_f16_e32 v89, v89, v90
	v_add_f16_e32 v40, v40, v79
	v_fma_f16 v79, v37, 0xb8d2, -v95
	v_add_f16_e32 v29, v29, v39
	v_fmamk_f16 v39, v26, 0xb8d2, v27
	v_mul_f16_e32 v90, 0x3bb2, v97
	v_fma_f16 v27, v26, 0xb8d2, -v27
	v_add_f16_e32 v5, v79, v5
	v_fmac_f16_e32 v95, 0xb8d2, v37
	v_add_f16_e32 v10, v39, v10
	v_fma_f16 v39, v37, 0xb461, -v90
	v_mul_f16_e32 v79, 0x3bb2, v38
	v_add_f16_e32 v27, v27, v30
	v_mul_f16_e32 v30, 0xb5c8, v97
	v_add_f16_e32 v4, v94, v4
	v_add_f16_e32 v12, v95, v12
	;; [unrolled: 1-line block ×3, first 2 shown]
	v_fmamk_f16 v39, v26, 0xb461, v79
	v_fmac_f16_e32 v90, 0xb461, v37
	v_fma_f16 v79, v26, 0xb461, -v79
	v_fma_f16 v94, v37, 0x3b76, -v30
	v_mul_f16_e32 v95, 0xb5c8, v38
	v_add_f16_e32 v39, v39, v82
	v_add_f16_e32 v9, v90, v9
	;; [unrolled: 1-line block ×4, first 2 shown]
	v_fmamk_f16 v79, v26, 0x3b76, v95
	v_mul_f16_e32 v82, 0xb836, v97
	v_fmac_f16_e32 v30, 0x3b76, v37
	v_fma_f16 v90, v26, 0x3b76, -v95
	v_mul_f16_e32 v94, 0xb836, v38
	v_add_f16_e32 v79, v79, v80
	v_fma_f16 v80, v37, 0xbacd, -v82
	v_add_f16_e32 v30, v30, v42
	v_add_f16_e32 v31, v90, v31
	v_fmamk_f16 v42, v26, 0xbacd, v94
	v_mul_f16_e32 v90, 0x3bf7, v97
	v_fmac_f16_e32 v82, 0xbacd, v37
	v_add_f16_e32 v8, v80, v8
	v_fma_f16 v80, v26, 0xbacd, -v94
	v_add_f16_e32 v42, v42, v93
	v_fma_f16 v93, v37, 0x2de8, -v90
	v_mul_f16_e32 v94, 0x3bf7, v38
	v_add_f16_e32 v32, v82, v32
	v_mul_f16_e32 v82, 0xb964, v97
	v_add_f16_e32 v88, v100, v88
	v_add_f16_e32 v80, v80, v84
	;; [unrolled: 1-line block ×3, first 2 shown]
	v_fmamk_f16 v85, v26, 0x2de8, v94
	v_fmac_f16_e32 v90, 0x2de8, v37
	v_fma_f16 v93, v26, 0x2de8, -v94
	v_fma_f16 v94, v37, 0x39e9, -v82
	v_mul_f16_e32 v95, 0xb964, v38
	v_add_f16_e32 v85, v85, v91
	v_add_f16_e32 v7, v90, v7
	v_add_f16_e32 v81, v93, v81
	v_add_f16_e32 v88, v94, v88
	v_fmamk_f16 v90, v26, 0x39e9, v95
	v_mul_f16_e32 v91, 0xb1e1, v97
	v_fmac_f16_e32 v82, 0x39e9, v37
	v_mul_f16_e32 v93, 0xb1e1, v38
	v_fma_f16 v94, v26, 0x39e9, -v95
	v_add_f16_e32 v36, v90, v36
	v_fma_f16 v90, v37, 0xbbdd, -v91
	v_add_f16_e32 v82, v82, v86
	v_fmamk_f16 v86, v26, 0xbbdd, v93
	v_add_f16_e32 v92, v94, v92
	v_mul_f16_e32 v94, 0x3b29, v97
	v_fmac_f16_e32 v91, 0xbbdd, v37
	v_add_f16_e32 v6, v90, v6
	v_add_f16_e32 v86, v86, v87
	v_fma_f16 v87, v26, 0xbbdd, -v93
	v_fma_f16 v90, v37, 0x3722, -v94
	v_mul_f16_e32 v38, 0x3b29, v38
	v_add_f16_e32 v33, v91, v33
	v_sub_f16_e32 v91, v24, v25
	v_add_f16_e32 v41, v87, v41
	v_add_f16_e32 v87, v90, v89
	v_fmamk_f16 v89, v26, 0x3722, v38
	v_fmac_f16_e32 v94, 0x3722, v37
	v_mul_f16_e32 v37, 0xb836, v91
	v_fma_f16 v26, v26, 0x3722, -v38
	v_add_f16_e32 v24, v25, v24
	v_mul_f16_e32 v25, 0xb836, v35
	v_add_f16_e32 v38, v89, v40
	v_fma_f16 v40, v34, 0xbacd, -v37
	v_add_f16_e32 v26, v26, v29
	v_mul_f16_e32 v89, 0x3b29, v91
	v_fmamk_f16 v29, v24, 0xbacd, v25
	v_fma_f16 v25, v24, 0xbacd, -v25
	v_add_f16_e32 v5, v40, v5
	v_mul_f16_e32 v40, 0x3b29, v35
	v_fmac_f16_e32 v37, 0xbacd, v34
	v_add_f16_e32 v10, v29, v10
	v_add_f16_e32 v25, v25, v27
	v_mul_f16_e32 v29, 0xbbf7, v91
	v_fmamk_f16 v27, v24, 0x3722, v40
	v_fma_f16 v90, v34, 0x3722, -v89
	v_add_f16_e32 v12, v37, v12
	v_fmac_f16_e32 v89, 0x3722, v34
	v_fma_f16 v37, v24, 0x3722, -v40
	v_mul_f16_e32 v40, 0xbbf7, v35
	v_add_f16_e32 v27, v27, v39
	v_fma_f16 v39, v34, 0x2de8, -v29
	v_add_f16_e32 v9, v89, v9
	v_add_f16_e32 v14, v37, v14
	v_fmamk_f16 v37, v24, 0x2de8, v40
	v_mul_f16_e32 v89, 0x3a62, v91
	v_add_f16_e32 v15, v39, v15
	v_fmac_f16_e32 v29, 0x2de8, v34
	v_fma_f16 v39, v24, 0x2de8, -v40
	v_mul_f16_e32 v40, 0x3a62, v35
	v_add_f16_e32 v13, v90, v13
	v_fma_f16 v90, v34, 0xb8d2, -v89
	v_add_f16_e32 v29, v29, v30
	v_add_f16_e32 v30, v39, v31
	v_fmamk_f16 v31, v24, 0xb8d2, v40
	v_mul_f16_e32 v39, 0xb5c8, v91
	v_fmac_f16_e32 v89, 0xb8d2, v34
	v_add_f16_e32 v37, v37, v79
	v_fma_f16 v40, v24, 0xb8d2, -v40
	v_mul_f16_e32 v79, 0xb5c8, v35
	v_add_f16_e32 v31, v31, v42
	v_fma_f16 v42, v34, 0x3b76, -v39
	v_add_f16_e32 v32, v89, v32
	v_mul_f16_e32 v89, 0xb1e1, v91
	v_add_f16_e32 v8, v90, v8
	v_add_f16_e32 v40, v40, v80
	v_fmamk_f16 v80, v24, 0x3b76, v79
	v_add_f16_e32 v42, v42, v84
	v_fmac_f16_e32 v39, 0x3b76, v34
	v_fma_f16 v79, v24, 0x3b76, -v79
	v_mul_f16_e32 v84, 0xb1e1, v35
	v_fma_f16 v90, v34, 0xbbdd, -v89
	v_add_f16_e32 v80, v80, v85
	v_add_f16_e32 v7, v39, v7
	;; [unrolled: 1-line block ×3, first 2 shown]
	v_fmamk_f16 v79, v24, 0xbbdd, v84
	v_add_f16_e32 v81, v90, v88
	v_mul_f16_e32 v85, 0x3964, v91
	v_fmac_f16_e32 v89, 0xbbdd, v34
	v_mul_f16_e32 v88, 0x3964, v35
	v_add_f16_e32 v36, v79, v36
	v_mul_f16_e32 v90, 0xbbb2, v91
	v_fma_f16 v79, v34, 0x39e9, -v85
	v_add_f16_e32 v82, v89, v82
	v_fmamk_f16 v89, v24, 0x39e9, v88
	v_fmac_f16_e32 v85, 0x39e9, v34
	v_mul_f16_e32 v35, 0xbbb2, v35
	v_add_f16_e32 v6, v79, v6
	v_fma_f16 v84, v24, 0xbbdd, -v84
	v_add_f16_e32 v79, v89, v86
	v_fma_f16 v86, v24, 0x39e9, -v88
	v_fma_f16 v88, v34, 0xb461, -v90
	v_add_f16_e32 v33, v85, v33
	v_sub_f16_e32 v85, v11, v83
	v_fmac_f16_e32 v90, 0xb461, v34
	v_add_f16_e32 v41, v86, v41
	v_add_f16_e32 v86, v88, v87
	v_add_f16_e32 v88, v1, v0
	v_mul_f16_e32 v89, 0xb1e1, v85
	v_sub_f16_e32 v0, v0, v1
	v_fmamk_f16 v87, v24, 0xb461, v35
	v_fma_f16 v1, v24, 0xb461, -v35
	v_add_f16_e32 v11, v83, v11
	v_fma_f16 v24, v88, 0xbbdd, -v89
	v_mul_f16_e32 v34, 0xb1e1, v0
	v_add_f16_e32 v35, v87, v38
	v_add_f16_e32 v1, v1, v26
	v_mul_f16_e32 v26, 0x35c8, v85
	v_add_f16_e32 v5, v24, v5
	v_fmamk_f16 v24, v11, 0xbbdd, v34
	v_fma_f16 v34, v11, 0xbbdd, -v34
	v_mul_f16_e32 v38, 0x35c8, v0
	v_mul_f16_e32 v83, 0xb836, v85
	;; [unrolled: 1-line block ×3, first 2 shown]
	v_add_f16_e32 v10, v24, v10
	v_fma_f16 v24, v88, 0x3b76, -v26
	v_add_f16_e32 v25, v34, v25
	v_fmamk_f16 v34, v11, 0x3b76, v38
	v_fmac_f16_e32 v26, 0x3b76, v88
	v_add_f16_e32 v4, v94, v4
	v_add_f16_e32 v13, v24, v13
	v_fma_f16 v24, v11, 0x3b76, -v38
	v_add_f16_e32 v27, v34, v27
	v_fma_f16 v34, v88, 0xbacd, -v83
	v_mul_f16_e32 v38, 0xb836, v0
	v_add_f16_e32 v9, v26, v9
	v_add_f16_e32 v14, v24, v14
	v_mul_f16_e32 v24, 0x3964, v85
	v_add_f16_e32 v15, v34, v15
	v_fmamk_f16 v26, v11, 0xbacd, v38
	v_fmac_f16_e32 v83, 0xbacd, v88
	v_fma_f16 v34, v11, 0xbacd, -v38
	v_fma_f16 v38, v88, 0x39e9, -v24
	v_fmac_f16_e32 v24, 0x39e9, v88
	v_add_f16_e32 v26, v26, v37
	v_add_f16_e32 v29, v83, v29
	;; [unrolled: 1-line block ×4, first 2 shown]
	v_fmamk_f16 v34, v11, 0x39e9, v87
	v_mul_f16_e32 v37, 0xba62, v85
	v_fma_f16 v38, v11, 0x39e9, -v87
	v_mul_f16_e32 v83, 0xba62, v0
	v_add_f16_e32 v24, v24, v32
	v_add_f16_e32 v31, v34, v31
	v_fma_f16 v34, v88, 0xb8d2, -v37
	v_add_f16_e32 v32, v38, v40
	v_fmamk_f16 v38, v11, 0xb8d2, v83
	v_mul_f16_e32 v40, 0x3b29, v85
	v_fmac_f16_e32 v37, 0xb8d2, v88
	v_add_f16_e32 v34, v34, v42
	v_fma_f16 v42, v11, 0xb8d2, -v83
	v_add_f16_e32 v38, v38, v80
	v_fma_f16 v80, v88, 0x3722, -v40
	v_mul_f16_e32 v83, 0x3b29, v0
	v_add_f16_e32 v7, v37, v7
	v_add_f16_e32 v37, v42, v39
	v_mul_f16_e32 v87, 0xbbb2, v0
	v_add_f16_e32 v42, v80, v81
	v_fmamk_f16 v80, v11, 0x3722, v83
	v_fmac_f16_e32 v40, 0x3722, v88
	v_mul_f16_e32 v0, 0x3bf7, v0
	v_fma_f16 v81, v11, 0x3722, -v83
	v_mul_f16_e32 v39, 0xbbb2, v85
	v_add_f16_e32 v36, v80, v36
	v_fmamk_f16 v80, v11, 0xb461, v87
	v_add_f16_e32 v40, v40, v82
	v_fma_f16 v82, v11, 0xb461, -v87
	v_fma_f16 v83, v88, 0xb461, -v39
	v_fmac_f16_e32 v39, 0xb461, v88
	v_add_f16_e32 v79, v80, v79
	v_fmamk_f16 v80, v11, 0x2de8, v0
	v_fma_f16 v0, v11, 0x2de8, -v0
	v_mul_lo_u16 v11, v16, 17
	v_add_f16_e32 v6, v83, v6
	v_mul_f16_e32 v83, 0x3bf7, v85
	v_add_f16_e32 v35, v80, v35
	v_add_f16_e32 v0, v0, v1
	v_and_b32_e32 v1, 0xffff, v11
	v_pack_b32_f16 v5, v5, v10
	v_pack_b32_f16 v10, v13, v27
	;; [unrolled: 1-line block ×3, first 2 shown]
	v_add_f16_e32 v4, v90, v4
	v_lshlrev_b32_e32 v80, 2, v1
	v_and_b32_e32 v1, 0xff, v16
	v_add_f16_e32 v33, v39, v33
	v_add_f16_e32 v39, v82, v41
	v_fma_f16 v41, v88, 0x2de8, -v83
	v_fmac_f16_e32 v83, 0x2de8, v88
	v_mul_lo_u16 v1, 0xf1, v1
	v_add_f16_e32 v84, v84, v92
	v_fmac_f16_e32 v89, 0xbbdd, v88
	v_add_f16_e32 v41, v41, v86
	v_add_f16_e32 v4, v83, v4
	v_lshrrev_b16 v36, 12, v1
	v_pack_b32_f16 v2, v2, v3
	v_add_f16_e32 v81, v81, v84
	v_pack_b32_f16 v3, v15, v26
	v_pack_b32_f16 v11, v34, v38
	v_mul_lo_u16 v1, v36, 17
	v_pack_b32_f16 v8, v8, v31
	v_pack_b32_f16 v6, v6, v79
	v_add_f16_e32 v12, v89, v12
	ds_store_2addr_b32 v80, v2, v5 offset1:1
	ds_store_2addr_b32 v80, v10, v3 offset0:2 offset1:3
	ds_store_2addr_b32 v80, v8, v11 offset0:4 offset1:5
	;; [unrolled: 1-line block ×3, first 2 shown]
	v_sub_nc_u16 v1, v16, v1
	v_pack_b32_f16 v0, v4, v0
	v_pack_b32_f16 v2, v41, v35
	;; [unrolled: 1-line block ×4, first 2 shown]
	v_and_b32_e32 v35, 0xff, v1
	v_pack_b32_f16 v5, v24, v32
	v_pack_b32_f16 v6, v7, v37
	;; [unrolled: 1-line block ×5, first 2 shown]
	ds_store_2addr_b32 v80, v2, v0 offset0:8 offset1:9
	ds_store_2addr_b32 v80, v4, v3 offset0:10 offset1:11
	;; [unrolled: 1-line block ×4, first 2 shown]
	ds_store_b32 v80, v9 offset:64
	v_lshlrev_b32_e32 v4, 6, v35
	global_wb scope:SCOPE_SE
	s_wait_dscnt 0x0
	s_barrier_signal -1
	s_barrier_wait -1
	global_inv scope:SCOPE_SE
	s_clause 0x3
	global_load_b128 v[12:15], v4, s[10:11]
	global_load_b128 v[8:11], v4, s[10:11] offset:16
	global_load_b128 v[0:3], v4, s[10:11] offset:32
	;; [unrolled: 1-line block ×3, first 2 shown]
	ds_load_2addr_b32 v[23:24], v23 offset0:76 offset1:178
	ds_load_2addr_b32 v[25:26], v18 offset0:152 offset1:254
	ds_load_2addr_b32 v[29:30], v19 offset0:100 offset1:202
	ds_load_2addr_b32 v[31:32], v17 offset0:48 offset1:150
	ds_load_2addr_b32 v[33:34], v22 offset0:124 offset1:226
	v_and_b32_e32 v36, 0xffff, v36
	s_delay_alu instid0(VALU_DEP_1)
	v_mul_u32_u24_e32 v36, 0x121, v36
	s_wait_dscnt 0x4
	v_lshrrev_b32_e32 v27, 16, v23
	v_lshrrev_b32_e32 v37, 16, v24
	s_wait_dscnt 0x3
	v_lshrrev_b32_e32 v38, 16, v25
	v_lshrrev_b32_e32 v39, 16, v26
	;; [unrolled: 3-line block ×4, first 2 shown]
	s_wait_loadcnt 0x3
	v_lshrrev_b32_e32 v95, 16, v13
	v_lshrrev_b32_e32 v93, 16, v14
	;; [unrolled: 1-line block ×3, first 2 shown]
	s_wait_loadcnt 0x2
	v_lshrrev_b32_e32 v91, 16, v8
	v_lshrrev_b32_e32 v89, 16, v9
	v_mul_f16_e32 v79, v27, v95
	v_mul_f16_e32 v22, v37, v93
	v_mul_f16_e32 v97, v23, v95
	v_lshrrev_b32_e32 v87, 16, v10
	v_lshrrev_b32_e32 v82, 16, v11
	v_fma_f16 v98, v23, v13, -v79
	v_mul_f16_e32 v23, v38, v90
	v_fma_f16 v100, v24, v14, -v22
	v_mul_f16_e32 v22, v39, v91
	s_wait_loadcnt 0x1
	v_lshrrev_b32_e32 v81, 16, v0
	v_mul_f16_e32 v103, v24, v93
	v_fma_f16 v102, v25, v15, -v23
	v_mul_f16_e32 v23, v40, v89
	v_fma_f16 v107, v26, v8, -v22
	v_mul_f16_e32 v22, v41, v87
	v_mul_f16_e32 v24, v84, v81
	;; [unrolled: 1-line block ×3, first 2 shown]
	v_fma_f16 v116, v29, v9, -v23
	v_mul_f16_e32 v23, v42, v82
	v_fma_f16 v121, v30, v10, -v22
	ds_load_2addr_b32 v[21:22], v21 offset0:72 offset1:174
	v_fma_f16 v129, v32, v0, -v24
	v_lshrrev_b32_e32 v83, 16, v1
	v_fma_f16 v79, v31, v11, -v23
	ds_load_2addr_b32 v[23:24], v20 offset0:148 offset1:250
	s_wait_dscnt 0x2
	v_lshrrev_b32_e32 v25, 16, v33
	v_mul_f16_e32 v108, v26, v91
	v_mul_f16_e32 v115, v29, v89
	;; [unrolled: 1-line block ×3, first 2 shown]
	v_mul_f16_e64 v132, v32, v81
	v_mul_f16_e64 v128, v33, v83
	v_mul_f16_e32 v20, v25, v83
	v_lshrrev_b32_e32 v26, 16, v34
	v_lshrrev_b32_e32 v85, 16, v2
	ds_load_b32 v29, v43 offset:6528
	ds_load_2addr_b32 v[31:32], v43 offset1:102
	v_fmac_f16_e64 v128, v25, v1
	v_fma_f16 v126, v33, v1, -v20
	v_mul_f16_e32 v20, v26, v85
	v_lshrrev_b32_e32 v86, 16, v3
	s_wait_dscnt 0x3
	v_lshrrev_b32_e32 v25, 16, v21
	v_mul_f16_e32 v123, v34, v85
	s_wait_loadcnt 0x0
	v_lshrrev_b32_e32 v94, 16, v5
	v_fma_f16 v120, v34, v2, -v20
	s_wait_dscnt 0x2
	v_lshrrev_b32_e32 v33, 16, v23
	v_mul_f16_e32 v20, v25, v86
	v_lshrrev_b32_e32 v34, 16, v24
	v_lshrrev_b32_e32 v88, 16, v6
	v_fmac_f16_e32 v97, v27, v13
	v_mul_f16_e32 v122, v30, v87
	v_fmac_f16_e64 v132, v84, v0
	v_lshrrev_b32_e32 v27, 16, v22
	v_lshrrev_b32_e32 v84, 16, v4
	v_fma_f16 v114, v21, v3, -v20
	v_mul_f16_e32 v20, v33, v94
	v_mul_f16_e32 v117, v21, v86
	;; [unrolled: 1-line block ×3, first 2 shown]
	v_lshrrev_b32_e32 v92, 16, v7
	v_lshrrev_b32_e32 v96, 16, v12
	v_fmac_f16_e32 v103, v37, v14
	v_fmac_f16_e32 v101, v38, v15
	;; [unrolled: 1-line block ×4, first 2 shown]
	v_mul_f16_e32 v30, v27, v84
	v_fma_f16 v40, v23, v5, -v20
	v_fma_f16 v41, v24, v6, -v21
	s_wait_dscnt 0x1
	v_lshrrev_b32_e32 v20, 16, v29
	v_mul_f16_e32 v37, v29, v92
	s_wait_dscnt 0x0
	v_lshrrev_b32_e32 v21, 16, v32
	v_mul_f16_e32 v38, v32, v96
	v_fma_f16 v106, v22, v4, -v30
	v_mul_f16_e32 v109, v22, v84
	v_mul_f16_e32 v22, v20, v92
	v_fmac_f16_e32 v37, v20, v7
	v_fmac_f16_e32 v38, v21, v12
	v_lshrrev_b32_e32 v20, 16, v31
	v_mul_f16_e32 v104, v23, v94
	v_fma_f16 v136, v29, v7, -v22
	v_mul_f16_e32 v23, v21, v96
	v_fmac_f16_e32 v108, v39, v8
	v_add_f16_e32 v22, v20, v38
	v_fmac_f16_e32 v109, v27, v4
	v_fmac_f16_e32 v127, v42, v11
	v_fma_f16 v32, v32, v12, -v23
	v_sub_f16_e32 v21, v38, v37
	v_add_f16_e32 v22, v22, v97
	v_mul_f16_e32 v42, v24, v88
	v_fmac_f16_e32 v123, v26, v2
	v_add_f16_e32 v27, v31, v32
	v_add_f16_e64 v23, v32, v136
	v_add_f16_e32 v22, v22, v103
	v_mul_f16_e32 v24, 0xb5c8, v21
	v_mul_f16_e32 v26, 0xb964, v21
	v_add_f16_e32 v27, v27, v98
	v_mul_f16_e32 v29, 0xbb29, v21
	v_add_f16_e32 v22, v22, v101
	v_mul_f16_e32 v39, 0xbbf7, v21
	v_mul_f16_e32 v99, 0xbbb2, v21
	v_add_f16_e32 v27, v27, v100
	v_mul_f16_e32 v111, 0xba62, v21
	v_add_f16_e32 v22, v22, v108
	v_mul_f16_e32 v118, 0xb836, v21
	v_mul_f16_e32 v21, 0xb1e1, v21
	v_add_f16_e32 v27, v27, v102
	v_fmac_f16_e32 v117, v25, v3
	v_add_f16_e32 v22, v22, v115
	v_fmac_f16_e32 v104, v33, v5
	v_fmac_f16_e32 v42, v34, v6
	v_add_f16_e32 v27, v27, v107
	v_fma_f16 v25, v23, 0x3b76, -v24
	v_add_f16_e32 v22, v22, v122
	v_fmac_f16_e32 v24, 0x3b76, v23
	v_fma_f16 v33, v23, 0x39e9, -v26
	v_add_f16_e32 v27, v27, v116
	v_fmac_f16_e32 v26, 0x39e9, v23
	v_add_f16_e32 v22, v22, v127
	v_fma_f16 v34, v23, 0x3722, -v29
	v_fmac_f16_e32 v29, 0x3722, v23
	v_add_f16_e32 v27, v27, v121
	v_fma_f16 v105, v23, 0x2de8, -v39
	v_add_f16_e64 v22, v22, v132
	v_fmac_f16_e32 v39, 0x2de8, v23
	v_fma_f16 v110, v23, 0xb461, -v99
	v_fmac_f16_e32 v99, 0xb461, v23
	v_fma_f16 v112, v23, 0xb8d2, -v111
	v_add_f16_e64 v22, v22, v128
	v_fmac_f16_e32 v111, 0xb8d2, v23
	v_fma_f16 v119, v23, 0xbacd, -v118
	v_fmac_f16_e32 v118, 0xbacd, v23
	v_fma_f16 v124, v23, 0xbbdd, -v21
	v_fmac_f16_e32 v21, 0xbbdd, v23
	v_add_f16_e32 v23, v27, v79
	v_add_f16_e32 v22, v22, v123
	v_add_f16_e64 v138, v31, v33
	v_add_f16_e32 v27, v31, v26
	v_add_f16_e64 v137, v31, v34
	v_add_f16_e64 v23, v23, v129
	v_add_f16_e32 v22, v22, v117
	v_add_f16_e32 v26, v31, v39
	v_sub_f16_e64 v39, v32, v136
	v_add_f16_e32 v125, v31, v25
	v_add_f16_e32 v23, v23, v126
	;; [unrolled: 1-line block ×5, first 2 shown]
	v_add_f16_e64 v135, v31, v105
	v_add_f16_e32 v23, v23, v120
	v_add_f16_e32 v22, v22, v104
	v_add_f16_e64 v133, v31, v110
	v_add_f16_e32 v25, v31, v99
	v_add_f16_e32 v113, v31, v112
	;; [unrolled: 1-line block ×10, first 2 shown]
	v_add_f16_e64 v139, v34, v37
	v_add_f16_e32 v37, v38, v37
	v_sub_f16_e32 v31, v97, v42
	v_mul_f16_e32 v99, 0xb5c8, v39
	v_sub_f16_e32 v34, v98, v41
	v_add_f16_e32 v105, v33, v40
	v_add_f16_e32 v32, v98, v41
	v_mul_f16_e32 v38, 0xb964, v31
	v_add_f16_e32 v33, v97, v42
	v_fmamk_f16 v98, v37, 0x3b76, v99
	v_mul_f16_e32 v42, 0xb964, v34
	v_add_f16_e64 v140, v105, v41
	v_fma_f16 v41, v32, 0x39e9, -v38
	v_sub_f16_e32 v97, v103, v104
	v_add_f16_e32 v105, v20, v98
	v_fmamk_f16 v110, v33, 0x39e9, v42
	v_sub_f16_e32 v98, v100, v40
	v_add_f16_e32 v40, v100, v40
	v_mul_f16_e32 v100, 0xbb29, v97
	v_add_f16_e32 v111, v41, v125
	v_add_f16_e32 v41, v103, v104
	v_mul_f16_e32 v103, 0xbb29, v98
	v_add_f16_e32 v110, v110, v105
	v_sub_f16_e32 v105, v101, v109
	v_fma_f16 v118, v40, 0x3722, -v100
	v_sub_f16_e32 v104, v102, v106
	v_fmamk_f16 v119, v41, 0x3722, v103
	v_add_f16_e32 v102, v102, v106
	v_mul_f16_e32 v106, 0xbbf7, v105
	v_add_f16_e32 v101, v101, v109
	v_mul_f16_e32 v109, 0xbbf7, v104
	v_add_f16_e32 v118, v118, v111
	v_add_f16_e32 v119, v119, v110
	v_sub_f16_e32 v110, v108, v117
	v_fma_f16 v124, v102, 0x2de8, -v106
	v_sub_f16_e32 v111, v107, v114
	v_fmamk_f16 v125, v101, 0x2de8, v109
	v_add_f16_e32 v107, v107, v114
	v_mul_f16_e32 v114, 0xbbb2, v110
	v_add_f16_e32 v124, v124, v118
	v_add_f16_e32 v108, v108, v117
	v_mul_f16_e32 v117, 0xbbb2, v111
	v_sub_f16_e32 v118, v116, v120
	v_add_f16_e32 v125, v125, v119
	v_fma_f16 v130, v107, 0xb461, -v114
	v_sub_f16_e32 v119, v115, v123
	v_fma_f16 v131, 0xb461, v108, v117
	v_add_f16_e32 v115, v115, v123
	v_mul_f16_e32 v123, 0xba62, v118
	v_add_f16_e32 v116, v116, v120
	v_mul_f16_e32 v120, 0xba62, v119
	v_add_f16_e64 v130, v130, v124
	v_add_f16_e64 v131, v131, v125
	v_sub_f16_e64 v124, v122, v128
	v_fma_f16 v141, 0xb8d2, v115, v123
	v_fma_f16 v134, v116, 0xb8d2, -v120
	v_sub_f16_e32 v125, v121, v126
	v_add_f16_e32 v121, v121, v126
	v_mul_f16_e32 v126, 0xb836, v124
	v_add_f16_e64 v141, v141, v131
	v_sub_f16_e64 v131, v127, v132
	v_add_f16_e64 v142, v134, v130
	v_sub_f16_e64 v130, v79, v129
	v_fma_f16 v143, v121, 0xbacd, -v126
	v_add_f16_e64 v127, v127, v132
	v_add_f16_e64 v129, v79, v129
	v_mul_f16_e64 v132, 0xb1e1, v131
	v_add_f16_e64 v122, v122, v128
	v_mul_f16_e64 v128, 0xb836, v125
	;; [unrolled: 2-line block ×3, first 2 shown]
	v_fma_f16 v142, v129, 0xbbdd, -v132
	v_mul_f16_e64 v165, 0xb964, v39
	v_fma_f16 v144, 0xbacd, v122, v128
	v_mul_f16_e64 v134, 0xb1e1, v130
	v_add_f16_e64 v136, v140, v136
	v_add_f16_e64 v140, v142, v79
	v_add_lshl_u32 v79, v36, v35, 2
	v_fma_f16 v35, v32, 0x2de8, -v164
	v_fma_f16 v36, 0x39e9, v37, v165
	v_mul_f16_e64 v169, 0xbbf7, v34
	v_add_f16_e64 v141, v144, v141
	v_fma_f16 v143, 0xbbdd, v127, v134
	v_mul_f16_e64 v168, 0xbb29, v39
	v_add_f16_e64 v35, v35, v138
	v_mul_f16_e64 v170, 0xba62, v31
	v_add_f16_e32 v36, v20, v36
	v_fma_f16 v138, 0x2de8, v33, v169
	v_mul_f16_e64 v159, 0xba62, v97
	v_add_f16_e64 v141, v143, v141
	v_pack_b32_f16 v166, v136, v139
	v_fma_f16 v136, 0x3722, v37, v168
	v_mul_f16_e64 v171, 0xba62, v34
	v_fma_f16 v139, v32, 0xb8d2, -v170
	v_add_f16_e64 v36, v138, v36
	v_mul_f16_e64 v162, 0xba62, v98
	v_fma_f16 v138, v40, 0xb8d2, -v159
	v_mul_f16_e64 v161, 0x31e1, v97
	v_pack_b32_f16 v167, v140, v141
	v_add_f16_e64 v136, v20, v136
	v_fma_f16 v140, 0xb8d2, v33, v171
	v_add_f16_e64 v137, v139, v137
	v_mul_f16_e64 v163, 0x31e1, v98
	v_fma_f16 v139, 0xb8d2, v41, v162
	v_mul_f16_e64 v152, 0xb1e1, v105
	v_add_f16_e64 v35, v138, v35
	v_fma_f16 v138, v40, 0xbbdd, -v161
	v_mul_f16_e64 v154, 0xb1e1, v104
	v_add_f16_e64 v136, v140, v136
	v_fma_f16 v140, 0xbbdd, v41, v163
	v_add_f16_e64 v36, v139, v36
	v_fma_f16 v139, v102, 0xbbdd, -v152
	v_add_f16_e64 v137, v138, v137
	v_mul_f16_e64 v153, 0x3bb2, v105
	v_fma_f16 v138, 0xbbdd, v101, v154
	v_mul_f16_e64 v155, 0x3bb2, v104
	v_add_f16_e64 v136, v140, v136
	v_add_f16_e64 v35, v139, v35
	v_mul_f16_e64 v146, 0x3836, v110
	v_fma_f16 v139, v102, 0xb461, -v153
	v_mul_f16_e64 v148, 0x3836, v111
	v_add_f16_e64 v36, v138, v36
	v_fma_f16 v138, 0xb461, v101, v155
	v_mul_f16_e64 v147, 0x3964, v110
	v_fma_f16 v140, v107, 0xbacd, -v146
	v_add_f16_e64 v137, v139, v137
	v_fma_f16 v139, 0xbacd, v108, v148
	v_add_f16_e64 v136, v138, v136
	v_mul_f16_e64 v149, 0x3964, v111
	v_fma_f16 v138, v107, 0x39e9, -v147
	v_mul_f16_e64 v142, 0x3bb2, v119
	v_add_f16_e64 v35, v140, v35
	v_add_f16_e64 v36, v139, v36
	v_fma_f16 v139, 0x39e9, v108, v149
	v_mul_f16_e64 v143, 0xb5c8, v119
	v_add_f16_e64 v137, v138, v137
	v_fma_f16 v138, v116, 0xb461, -v142
	v_mul_f16_e64 v144, 0x3bb2, v118
	v_add_f16_e64 v136, v139, v136
	v_fma_f16 v139, v116, 0x3b76, -v143
	v_mul_f16_e64 v145, 0xb5c8, v118
	v_add_f16_e64 v35, v138, v35
	v_mul_f16_e64 v138, 0x3b29, v124
	v_fma_f16 v140, 0xb461, v115, v144
	v_add_f16_e64 v137, v139, v137
	v_fma_f16 v150, 0x3b76, v115, v145
	v_mul_f16_e64 v139, 0xbbf7, v124
	v_fma_f16 v151, v121, 0x3722, -v138
	v_mul_f16_e64 v141, 0xbbf7, v125
	v_add_f16_e64 v36, v140, v36
	v_mul_f16_e64 v140, 0x3b29, v125
	v_add_f16_e64 v150, v150, v136
	v_fma_f16 v156, v121, 0x2de8, -v139
	v_add_f16_e64 v151, v151, v35
	v_fma_f16 v157, 0x2de8, v122, v141
	v_mul_f16_e64 v35, 0x35c8, v131
	v_fma_f16 v136, 0x3722, v122, v140
	v_add_f16_e64 v156, v156, v137
	v_mul_f16_e64 v137, 0xb836, v130
	v_add_f16_e64 v150, v157, v150
	v_fma_f16 v157, v129, 0x3b76, -v35
	v_add_f16_e64 v158, v136, v36
	v_mul_f16_e64 v136, 0x35c8, v130
	v_mul_f16_e64 v36, 0xb836, v131
	;; [unrolled: 1-line block ×3, first 2 shown]
	v_add_f16_e64 v173, v157, v151
	v_fma_f16 v157, 0xbacd, v127, v137
	v_fma_f16 v160, 0x3b76, v127, v136
	v_mul_f16_e64 v172, 0xb1e1, v31
	v_fma_f16 v151, v129, 0xbacd, -v36
	v_mul_f16_e64 v178, 0xbbb2, v39
	v_add_f16_e64 v177, v157, v150
	v_fma_f16 v150, 0x2de8, v37, v175
	v_mul_f16_e64 v179, 0xb1e1, v34
	v_mul_f16_e64 v180, 0x3836, v31
	v_add_f16_e64 v174, v160, v158
	v_fma_f16 v158, v32, 0xbbdd, -v172
	v_add_f16_e64 v176, v151, v156
	v_fma_f16 v151, 0xb461, v37, v178
	v_mul_f16_e64 v181, 0x3836, v34
	v_add_f16_e64 v150, v20, v150
	v_fma_f16 v156, 0xbbdd, v33, v179
	v_fma_f16 v157, v32, 0xbacd, -v180
	v_mul_f16_e64 v182, 0x3bb2, v97
	v_mul_f16_e64 v183, 0x3bb2, v98
	v_add_f16_e64 v135, v158, v135
	v_add_f16_e64 v151, v20, v151
	v_fma_f16 v158, 0xbacd, v33, v181
	v_add_f16_e64 v150, v156, v150
	v_add_f16_e64 v133, v157, v133
	v_fma_f16 v156, v40, 0xb461, -v182
	v_fma_f16 v157, 0xb461, v41, v183
	v_mul_f16_e64 v184, 0x3964, v97
	v_mul_f16_e64 v185, 0x3964, v98
	v_add_f16_e64 v151, v158, v151
	v_mul_f16_e64 v186, 0x35c8, v105
	v_add_f16_e64 v135, v156, v135
	v_add_f16_e64 v150, v157, v150
	v_fma_f16 v156, v40, 0x39e9, -v184
	v_fma_f16 v157, 0x39e9, v41, v185
	v_mul_f16_e64 v187, 0x35c8, v104
	v_mul_f16_e64 v188, 0xbb29, v105
	v_fma_f16 v158, v102, 0x3b76, -v186
	v_add_f16_e64 v133, v156, v133
	v_add_f16_e64 v151, v157, v151
	v_fma_f16 v156, 0x3b76, v101, v187
	v_fma_f16 v157, v102, 0x3722, -v188
	v_mul_f16_e64 v189, 0xbb29, v104
	v_mul_f16_e64 v190, 0xbb29, v110
	v_add_f16_e64 v135, v158, v135
	v_mul_f16_e64 v191, 0xbb29, v111
	v_add_f16_e64 v150, v156, v150
	v_add_f16_e64 v133, v157, v133
	v_fma_f16 v156, 0x3722, v101, v189
	v_fma_f16 v157, v107, 0x3722, -v190
	v_mul_f16_e64 v192, 0xb1e1, v110
	v_mul_f16_e64 v193, 0xb1e1, v111
	v_fma_f16 v158, 0x3722, v108, v191
	v_add_f16_e64 v151, v156, v151
	v_add_f16_e64 v135, v157, v135
	v_fma_f16 v156, v107, 0xbbdd, -v192
	v_fma_f16 v157, 0xbbdd, v108, v193
	v_mul_f16_e64 v194, 0xb836, v119
	v_mul_f16_e64 v195, 0xb836, v118
	v_add_f16_e64 v150, v158, v150
	v_mul_f16_e64 v196, 0x3bf7, v119
	v_add_f16_e64 v133, v156, v133
	v_add_f16_e64 v151, v157, v151
	v_fma_f16 v157, v116, 0xbacd, -v194
	v_fma_f16 v158, 0xbacd, v115, v195
	v_mul_f16_e64 v197, 0x3bf7, v118
	v_mul_f16_e64 v156, 0x3a62, v124
	v_fma_f16 v160, v116, 0x2de8, -v196
	v_add_f16_e64 v135, v157, v135
	v_add_f16_e64 v150, v158, v150
	v_fma_f16 v198, 0x2de8, v115, v197
	v_fma_f16 v199, v121, 0xb8d2, -v156
	v_mul_f16_e64 v158, 0x3a62, v125
	v_mul_f16_e64 v157, 0xb5c8, v124
	v_add_f16_e64 v133, v160, v133
	v_mul_f16_e64 v160, 0xb5c8, v125
	v_add_f16_e64 v198, v198, v151
	v_add_f16_e64 v199, v199, v135
	v_fma_f16 v200, 0xb8d2, v122, v158
	v_fma_f16 v201, v121, 0x3b76, -v157
	v_mul_f16_e64 v135, 0x3964, v131
	v_mul_f16_e64 v151, 0x3964, v130
	v_fma_f16 v202, 0x3b76, v122, v160
	v_add_f16_e64 v200, v200, v150
	v_add_f16_e64 v201, v201, v133
	v_fma_f16 v203, v129, 0x39e9, -v135
	v_mul_f16_e64 v150, 0xba62, v131
	v_mul_f16_e64 v133, 0xba62, v130
	v_fma_f16 v204, 0x39e9, v127, v151
	v_add_f16_e64 v198, v202, v198
	v_add_f16_e64 v199, v203, v199
	v_fma_f16 v202, v129, 0xb8d2, -v150
	v_fma_f16 v203, 0xb8d2, v127, v133
	v_add_f16_e64 v200, v204, v200
	v_mul_f16_e64 v204, 0x3bb2, v31
	v_mul_f16_e64 v205, 0xba62, v39
	v_add_f16_e64 v201, v202, v201
	v_add_f16_e64 v198, v203, v198
	v_pack_b32_f16 v173, v173, v174
	v_fma_f16 v174, v32, 0xb461, -v204
	v_fma_f16 v202, 0xb8d2, v37, v205
	v_mul_f16_e64 v203, 0xb836, v39
	v_mul_f16_e64 v206, 0x3bb2, v34
	;; [unrolled: 1-line block ×3, first 2 shown]
	v_add_f16_e64 v113, v174, v113
	v_add_f16_e64 v174, v20, v202
	v_fma_f16 v202, 0xbacd, v37, v203
	v_mul_f16_e64 v208, 0x3b29, v34
	v_fma_f16 v209, 0xb461, v33, v206
	v_fma_f16 v210, v32, 0x3722, -v207
	v_mul_f16_e64 v211, 0xb5c8, v97
	v_add_f16_e64 v202, v20, v202
	v_fma_f16 v212, 0x3722, v33, v208
	v_mul_f16_e64 v213, 0xb5c8, v98
	v_add_f16_e64 v174, v209, v174
	v_add_f16_e64 v112, v210, v112
	v_fma_f16 v209, v40, 0x3b76, -v211
	v_add_f16_e64 v202, v212, v202
	v_fma_f16 v210, 0x3b76, v41, v213
	v_mul_f16_e64 v212, 0xbbf7, v97
	v_mul_f16_e64 v214, 0xbbf7, v98
	;; [unrolled: 1-line block ×3, first 2 shown]
	v_add_f16_e64 v113, v209, v113
	v_add_f16_e64 v174, v210, v174
	v_fma_f16 v209, v40, 0x2de8, -v212
	v_fma_f16 v210, 0x2de8, v41, v214
	v_fma_f16 v216, v102, 0xbacd, -v215
	v_mul_f16_e64 v217, 0xb836, v104
	v_mul_f16_e64 v218, 0x3a62, v105
	v_add_f16_e64 v112, v209, v112
	v_add_f16_e64 v202, v210, v202
	;; [unrolled: 1-line block ×3, first 2 shown]
	v_fma_f16 v209, 0xbacd, v101, v217
	v_fma_f16 v210, v102, 0xb8d2, -v218
	v_mul_f16_e64 v216, 0x3a62, v104
	v_mul_f16_e64 v219, 0x3bf7, v110
	;; [unrolled: 1-line block ×3, first 2 shown]
	v_add_f16_e64 v174, v209, v174
	v_add_f16_e64 v112, v210, v112
	v_fma_f16 v209, 0xb8d2, v101, v216
	v_fma_f16 v210, v107, 0x2de8, -v219
	v_fma_f16 v221, 0x2de8, v108, v220
	v_mul_f16_e64 v222, 0xb5c8, v110
	v_mul_f16_e64 v223, 0xb5c8, v111
	v_add_f16_e64 v202, v209, v202
	v_add_f16_e64 v113, v210, v113
	;; [unrolled: 1-line block ×3, first 2 shown]
	v_fma_f16 v209, v107, 0x3b76, -v222
	v_fma_f16 v210, 0x3b76, v108, v223
	v_mul_f16_e64 v221, 0xb964, v119
	v_mul_f16_e64 v224, 0xb964, v118
	;; [unrolled: 1-line block ×3, first 2 shown]
	v_add_f16_e64 v112, v209, v112
	v_add_f16_e64 v202, v210, v202
	v_fma_f16 v209, v116, 0x39e9, -v221
	v_fma_f16 v210, 0x39e9, v115, v224
	v_fma_f16 v226, v116, 0xbbdd, -v225
	v_mul_f16_e64 v227, 0xb1e1, v118
	v_mul_f16_e64 v228, 0xb1e1, v124
	v_add_f16_e64 v113, v209, v113
	v_add_f16_e64 v174, v210, v174
	;; [unrolled: 1-line block ×3, first 2 shown]
	v_fma_f16 v209, 0xbbdd, v115, v227
	v_fma_f16 v210, v121, 0xbbdd, -v228
	v_mul_f16_e64 v226, 0xb1e1, v125
	v_mul_f16_e64 v229, 0x3964, v124
	;; [unrolled: 1-line block ×3, first 2 shown]
	v_add_f16_e64 v202, v209, v202
	v_add_f16_e64 v113, v210, v113
	v_fma_f16 v209, 0xbbdd, v122, v226
	v_fma_f16 v210, v121, 0x39e9, -v229
	v_fma_f16 v231, 0x39e9, v122, v230
	v_mul_f16_e64 v232, 0x3b29, v131
	v_mul_f16_e64 v233, 0x3b29, v130
	v_add_f16_e64 v174, v209, v174
	v_add_f16_e64 v112, v210, v112
	;; [unrolled: 1-line block ×3, first 2 shown]
	v_fma_f16 v209, v129, 0x3722, -v232
	v_fma_f16 v210, 0x3722, v127, v233
	v_mul_f16_e64 v231, 0xbbb2, v131
	v_mul_f16_e64 v234, 0xbbb2, v130
	v_mul_f16_e32 v39, 0xb1e1, v39
	v_add_f16_e64 v113, v209, v113
	v_add_f16_e64 v174, v210, v174
	v_fma_f16 v209, v129, 0xb461, -v231
	v_fma_f16 v210, 0xb461, v127, v234
	v_pack_b32_f16 v176, v176, v177
	v_pack_b32_f16 v177, v199, v200
	;; [unrolled: 1-line block ×3, first 2 shown]
	v_add_f16_e64 v112, v209, v112
	v_add_f16_e64 v202, v210, v202
	v_pack_b32_f16 v113, v113, v174
	global_wb scope:SCOPE_SE
	s_barrier_signal -1
	s_barrier_wait -1
	v_pack_b32_f16 v112, v112, v202
	global_inv scope:SCOPE_SE
	ds_store_2addr_b32 v79, v166, v167 offset1:17
	ds_store_2addr_b32 v79, v173, v176 offset0:34 offset1:51
	ds_store_2addr_b32 v79, v177, v198 offset0:68 offset1:85
	;; [unrolled: 1-line block ×3, first 2 shown]
	v_fma_f16 v99, v37, 0x3b76, -v99
	v_fma_f16 v112, v37, 0x39e9, -v165
	v_fma_f16 v113, v37, 0x3722, -v168
	v_fma_f16 v165, v37, 0x2de8, -v175
	v_fma_f16 v166, v37, 0xb461, -v178
	v_fma_f16 v167, v37, 0xb8d2, -v205
	v_fma_f16 v168, v37, 0xbacd, -v203
	v_fma_f16 v173, 0xbbdd, v37, v39
	v_fma_f16 v37, v37, 0xbbdd, -v39
	v_fmac_f16_e64 v164, 0x2de8, v32
	v_mul_f16_e32 v31, 0x35c8, v31
	v_add_f16_e32 v39, v20, v99
	v_add_f16_e32 v99, v20, v112
	;; [unrolled: 1-line block ×3, first 2 shown]
	v_add_f16_e64 v113, v20, v165
	v_add_f16_e64 v165, v20, v166
	;; [unrolled: 1-line block ×4, first 2 shown]
	v_fmac_f16_e32 v38, 0x39e9, v32
	v_add_f16_e64 v168, v20, v173
	v_add_f16_e32 v20, v20, v37
	v_fma_f16 v37, v33, 0x39e9, -v42
	v_add_f16_e64 v27, v164, v27
	v_mul_f16_e32 v34, 0x35c8, v34
	v_fma_f16 v164, v32, 0x3b76, -v31
	v_fmac_f16_e32 v31, 0x3b76, v32
	v_add_f16_e32 v30, v38, v30
	v_fma_f16 v38, v33, 0x2de8, -v169
	v_fmac_f16_e64 v170, 0xb8d2, v32
	v_add_f16_e32 v37, v37, v39
	v_fma_f16 v39, v33, 0xb8d2, -v171
	v_fmac_f16_e64 v172, 0xbbdd, v32
	v_fmac_f16_e64 v180, 0xbacd, v32
	v_fmac_f16_e64 v204, 0xb461, v32
	v_fmac_f16_e64 v207, 0x3722, v32
	v_fma_f16 v32, v33, 0x3b76, -v34
	v_add_f16_e32 v21, v31, v21
	v_fma_f16 v31, v41, 0x3722, -v103
	v_add_f16_e32 v38, v38, v99
	;; [unrolled: 2-line block ×6, first 2 shown]
	v_add_f16_e64 v99, v99, v165
	v_fmac_f16_e32 v100, 0x3722, v40
	v_add_f16_e32 v32, v32, v38
	v_fma_f16 v38, v41, 0xb461, -v183
	v_add_f16_e32 v37, v37, v39
	v_fma_f16 v39, v41, 0x39e9, -v185
	v_mul_f16_e32 v97, 0xb836, v97
	v_mul_f16_e32 v98, 0xb836, v98
	v_fmac_f16_e64 v159, 0xb8d2, v40
	v_add_f16_e32 v30, v100, v30
	v_fmac_f16_e64 v161, 0xbbdd, v40
	v_fmac_f16_e64 v182, 0xb461, v40
	;; [unrolled: 1-line block ×3, first 2 shown]
	v_add_f16_e32 v38, v38, v42
	v_fmac_f16_e64 v211, 0x3b76, v40
	v_add_f16_e32 v39, v39, v99
	v_fma_f16 v42, v41, 0x3b76, -v213
	v_fmac_f16_e64 v212, 0x2de8, v40
	v_fma_f16 v99, v41, 0x2de8, -v214
	v_fma_f16 v100, v40, 0xbacd, -v97
	v_fmamk_f16 v103, v41, 0xbacd, v98
	v_fmac_f16_e32 v97, 0xbacd, v40
	v_fma_f16 v40, v41, 0xbacd, -v98
	v_fma_f16 v41, v101, 0xbbdd, -v154
	v_fma_f16 v112, v33, 0xb461, -v206
	v_fma_f16 v113, v33, 0x3722, -v208
	v_add_f16_e32 v21, v97, v21
	v_add_f16_e32 v20, v40, v20
	;; [unrolled: 1-line block ×3, first 2 shown]
	v_fma_f16 v41, v101, 0x3b76, -v187
	v_fma_f16 v40, v101, 0x2de8, -v109
	v_add_f16_e64 v112, v112, v166
	v_fma_f16 v165, 0x3b76, v33, v34
	v_add_f16_e64 v33, v113, v167
	v_add_f16_e32 v38, v41, v38
	v_mul_f16_e32 v41, 0x3964, v105
	v_add_f16_e32 v31, v40, v31
	v_fma_f16 v40, v101, 0xb461, -v155
	v_add_f16_e32 v42, v42, v112
	v_add_f16_e32 v33, v99, v33
	v_fma_f16 v98, v102, 0x39e9, -v41
	v_fmac_f16_e32 v41, 0x39e9, v102
	v_add_f16_e32 v37, v40, v37
	v_fma_f16 v40, v101, 0x3722, -v189
	v_add_f16_e64 v22, v164, v22
	v_mul_f16_e32 v97, 0x3964, v104
	v_add_f16_e32 v21, v41, v21
	v_fma_f16 v41, v108, 0xb461, -v117
	v_add_f16_e32 v39, v40, v39
	v_fma_f16 v40, v101, 0xbacd, -v217
	v_add_f16_e32 v22, v100, v22
	v_add_f16_e64 v26, v172, v26
	v_add_f16_e32 v31, v41, v31
	v_fma_f16 v41, v108, 0x39e9, -v149
	v_add_f16_e32 v40, v40, v42
	v_fma_f16 v42, v101, 0xb8d2, -v216
	v_add_f16_e32 v22, v98, v22
	v_add_f16_e64 v25, v180, v25
	v_add_f16_e32 v37, v41, v37
	v_fma_f16 v41, v108, 0xbbdd, -v193
	v_add_f16_e32 v33, v42, v33
	v_fma_f16 v42, v108, 0xbacd, -v148
	v_add_f16_e64 v34, v165, v168
	v_fmamk_f16 v99, v101, 0x39e9, v97
	v_add_f16_e32 v39, v41, v39
	v_fma_f16 v41, v108, 0x2de8, -v220
	v_add_f16_e32 v32, v42, v32
	v_fma_f16 v42, v108, 0x3722, -v191
	v_fma_f16 v97, v101, 0x39e9, -v97
	v_add_f16_e64 v29, v170, v29
	v_add_f16_e32 v40, v41, v40
	v_fma_f16 v41, v108, 0x3b76, -v223
	v_add_f16_e32 v38, v42, v38
	v_mul_f16_e32 v42, 0xba62, v110
	v_add_f16_e64 v27, v159, v27
	v_add_f16_e64 v26, v182, v26
	v_add_f16_e32 v33, v41, v33
	v_fma_f16 v41, v115, 0xb8d2, -v123
	v_fma_f16 v98, v107, 0xb8d2, -v42
	v_fmac_f16_e32 v42, 0xb8d2, v107
	v_add_f16_e64 v25, v184, v25
	v_add_f16_e32 v34, v103, v34
	v_add_f16_e32 v31, v41, v31
	v_fma_f16 v41, v115, 0x3b76, -v145
	v_add_f16_e32 v21, v42, v21
	v_fma_f16 v42, v115, 0xb461, -v144
	v_fmac_f16_e32 v106, 0x2de8, v102
	v_fmac_f16_e64 v152, 0xbbdd, v102
	v_add_f16_e32 v37, v41, v37
	v_fma_f16 v41, v115, 0x2de8, -v197
	v_add_f16_e32 v32, v42, v32
	v_fma_f16 v42, v115, 0xbacd, -v195
	v_fmac_f16_e64 v186, 0x3b76, v102
	v_fmac_f16_e64 v188, 0x3722, v102
	v_add_f16_e32 v39, v41, v39
	v_fma_f16 v41, v115, 0x39e9, -v224
	v_add_f16_e32 v20, v97, v20
	v_mul_f16_e32 v97, 0xba62, v111
	v_add_f16_e32 v38, v42, v38
	v_mul_f16_e32 v42, 0x3b29, v119
	v_add_f16_e32 v40, v41, v40
	v_fma_f16 v41, v115, 0xbbdd, -v227
	v_add_f16_e64 v29, v161, v29
	v_fmac_f16_e64 v153, 0xb461, v102
	v_add_f16_e32 v30, v106, v30
	v_add_f16_e64 v27, v152, v27
	v_add_f16_e32 v33, v41, v33
	v_fma_f16 v41, v122, 0xbacd, -v128
	v_add_f16_e64 v26, v186, v26
	v_add_f16_e64 v25, v188, v25
	v_add_f16_e32 v34, v99, v34
	v_fmac_f16_e32 v114, 0xb461, v107
	v_fmac_f16_e64 v146, 0xbacd, v107
	v_fmac_f16_e64 v190, 0x3722, v107
	;; [unrolled: 1-line block ×3, first 2 shown]
	v_fmamk_f16 v99, v108, 0xb8d2, v97
	v_fma_f16 v97, v108, 0xb8d2, -v97
	v_add_f16_e32 v22, v98, v22
	v_fma_f16 v98, v116, 0x3722, -v42
	v_fmac_f16_e32 v42, 0x3722, v116
	v_add_f16_e64 v24, v204, v24
	v_add_f16_e64 v23, v207, v23
	v_add_f16_e32 v31, v41, v31
	v_fma_f16 v41, v122, 0x2de8, -v141
	v_add_f16_e64 v29, v153, v29
	v_fmac_f16_e64 v147, 0x39e9, v107
	v_add_f16_e32 v30, v114, v30
	v_add_f16_e64 v27, v146, v27
	v_add_f16_e64 v26, v190, v26
	;; [unrolled: 1-line block ×3, first 2 shown]
	v_fmac_f16_e32 v120, 0xb8d2, v116
	v_add_f16_e32 v20, v97, v20
	v_fmac_f16_e64 v142, 0xb461, v116
	v_fmac_f16_e64 v194, 0xbacd, v116
	v_fmac_f16_e64 v196, 0x2de8, v116
	v_mul_f16_e32 v97, 0x3b29, v118
	v_add_f16_e32 v21, v42, v21
	v_fma_f16 v42, v122, 0x3722, -v140
	v_add_f16_e64 v24, v211, v24
	v_add_f16_e64 v23, v212, v23
	v_fmac_f16_e64 v215, 0xbacd, v102
	v_fmac_f16_e64 v218, 0xb8d2, v102
	v_add_f16_e32 v37, v41, v37
	v_fma_f16 v41, v122, 0x3b76, -v160
	v_add_f16_e64 v29, v147, v29
	v_fmac_f16_e64 v143, 0x3b76, v116
	v_add_f16_e32 v34, v99, v34
	v_add_f16_e32 v30, v120, v30
	v_add_f16_e64 v27, v142, v27
	v_add_f16_e64 v26, v194, v26
	;; [unrolled: 1-line block ×3, first 2 shown]
	v_fmamk_f16 v99, v115, 0x3722, v97
	v_fma_f16 v97, v115, 0x3722, -v97
	v_fmac_f16_e32 v126, 0xbacd, v121
	v_fmac_f16_e64 v138, 0x3722, v121
	v_add_f16_e32 v32, v42, v32
	v_fmac_f16_e64 v156, 0xb8d2, v121
	v_fma_f16 v42, v122, 0xb8d2, -v158
	v_fmac_f16_e64 v157, 0x3b76, v121
	v_add_f16_e64 v24, v215, v24
	v_add_f16_e64 v23, v218, v23
	v_fmac_f16_e64 v219, 0x2de8, v107
	v_fmac_f16_e64 v222, 0x3b76, v107
	v_add_f16_e32 v39, v41, v39
	v_fma_f16 v41, v122, 0xbbdd, -v226
	v_add_f16_e64 v29, v143, v29
	v_fmac_f16_e64 v139, 0x2de8, v121
	v_add_f16_e32 v20, v97, v20
	v_add_f16_e32 v30, v126, v30
	v_add_f16_e64 v27, v138, v27
	v_add_f16_e64 v26, v156, v26
	v_add_f16_e32 v38, v42, v38
	v_add_f16_e64 v25, v157, v25
	v_mul_f16_e32 v42, 0xbbb2, v124
	v_mul_f16_e32 v97, 0xbbb2, v125
	v_fmac_f16_e64 v132, 0xbbdd, v129
	v_fmac_f16_e64 v35, 0x3b76, v129
	v_fmac_f16_e64 v135, 0x39e9, v129
	v_fmac_f16_e64 v150, 0xb8d2, v129
	v_add_f16_e64 v24, v219, v24
	v_add_f16_e64 v23, v222, v23
	v_fmac_f16_e64 v221, 0x39e9, v116
	v_fmac_f16_e64 v225, 0xbbdd, v116
	v_add_f16_e32 v40, v41, v40
	v_fma_f16 v41, v122, 0x39e9, -v230
	v_add_f16_e64 v29, v139, v29
	v_fmac_f16_e64 v36, 0xbacd, v129
	v_add_f16_e32 v22, v98, v22
	v_add_f16_e32 v34, v99, v34
	v_fmac_f16_e64 v228, 0xbbdd, v121
	v_fmac_f16_e64 v229, 0x39e9, v121
	v_fma_f16 v98, v121, 0xb461, -v42
	v_fmamk_f16 v99, v122, 0xb461, v97
	v_fmac_f16_e32 v42, 0xb461, v121
	v_fma_f16 v97, v122, 0xb461, -v97
	v_add_f16_e64 v115, v132, v30
	v_fma_f16 v30, v127, 0x3b76, -v136
	v_add_f16_e32 v116, v35, v27
	v_fma_f16 v27, v127, 0xbacd, -v137
	v_add_f16_e64 v121, v135, v26
	v_mul_f16_e64 v26, 0x3bf7, v131
	v_add_f16_e64 v117, v150, v25
	v_mul_f16_e64 v25, 0x3bf7, v130
	v_add_f16_e64 v24, v221, v24
	v_add_f16_e64 v23, v225, v23
	v_add_f16_e32 v33, v41, v33
	v_fma_f16 v41, v127, 0xbbdd, -v134
	v_add_f16_e32 v119, v36, v29
	v_fma_f16 v29, v127, 0x39e9, -v151
	v_add_f16_e32 v22, v98, v22
	v_add_f16_e32 v34, v99, v34
	;; [unrolled: 1-line block ×6, first 2 shown]
	v_fma_f16 v27, v129, 0x2de8, -v26
	v_fmac_f16_e64 v26, 0x2de8, v129
	v_fmamk_f16 v30, v127, 0x2de8, v25
	v_fma_f16 v25, v127, 0x2de8, -v25
	v_add_f16_e64 v24, v228, v24
	v_add_f16_e64 v23, v229, v23
	v_add_f16_e32 v120, v41, v31
	v_fmac_f16_e64 v232, 0x3722, v129
	v_fmac_f16_e64 v231, 0xb461, v129
	v_fma_f16 v31, v127, 0x3722, -v233
	v_fma_f16 v32, v127, 0xb461, -v234
	v_add_f16_e32 v124, v29, v38
	v_fma_f16 v29, v127, 0xb8d2, -v133
	v_add_f16_e32 v22, v27, v22
	v_add_f16_e32 v27, v30, v34
	v_add_f16_e32 v21, v26, v21
	v_add_f16_e32 v20, v25, v20
	v_add_f16_e64 v24, v232, v24
	v_add_f16_e64 v23, v231, v23
	v_add_f16_e32 v25, v32, v33
	v_add_f16_e32 v26, v31, v40
	;; [unrolled: 1-line block ×3, first 2 shown]
	v_pack_b32_f16 v22, v22, v27
	v_pack_b32_f16 v20, v21, v20
	;; [unrolled: 1-line block ×9, first 2 shown]
	ds_store_2addr_b32 v79, v22, v20 offset0:136 offset1:153
	ds_store_2addr_b32 v79, v21, v23 offset0:170 offset1:187
	;; [unrolled: 1-line block ×4, first 2 shown]
	ds_store_b32 v79, v29 offset:1088
	v_add_nc_u32_e32 v20, 0x1000, v43
	v_add_nc_u32_e32 v21, 0x1600, v43
	global_wb scope:SCOPE_SE
	s_wait_dscnt 0x0
	s_barrier_signal -1
	s_barrier_wait -1
	global_inv scope:SCOPE_SE
	ds_load_2addr_b32 v[39:40], v18 offset0:33 offset1:135
	ds_load_2addr_b32 v[35:36], v19 offset0:66 offset1:168
	ds_load_2addr_b32 v[41:42], v17 offset0:99 offset1:201
	ds_load_2addr_b32 v[37:38], v20 offset0:132 offset1:234
	ds_load_2addr_b32 v[33:34], v21 offset0:37 offset1:139
	ds_load_2addr_b32 v[31:32], v43 offset1:102
	v_add_co_u32 v29, s0, s8, v43
	s_wait_alu 0xf1ff
	v_add_co_ci_u32_e64 v30, null, s9, 0, s0
                                        ; implicit-def: $vgpr125
                                        ; implicit-def: $vgpr126
	s_and_saveexec_b32 s0, vcc_lo
	s_cbranch_execz .LBB0_3
; %bb.2:
	ds_load_b32 v117, v43 offset:816
	ds_load_b32 v121, v43 offset:1972
	;; [unrolled: 1-line block ×6, first 2 shown]
	s_wait_dscnt 0x5
	v_lshrrev_b32_e32 v118, 16, v117
	s_wait_dscnt 0x4
	v_lshrrev_b32_e32 v124, 16, v121
	;; [unrolled: 2-line block ×6, first 2 shown]
.LBB0_3:
	s_wait_alu 0xfffe
	s_or_b32 exec_lo, exec_lo, s0
	v_mad_co_u64_u32 v[16:17], null, v71, 20, s[10:11]
	s_wait_dscnt 0x4
	v_lshrrev_b32_e32 v99, 16, v35
	s_wait_dscnt 0x3
	v_lshrrev_b32_e32 v100, 16, v41
	;; [unrolled: 2-line block ×4, first 2 shown]
	v_lshrrev_b32_e32 v127, 16, v40
	v_lshrrev_b32_e32 v130, 16, v36
	s_clause 0x3
	global_load_b128 v[24:27], v[16:17], off offset:1088
	global_load_b32 v104, v[16:17], off offset:1104
	global_load_b128 v[20:23], v[16:17], off offset:3128
	global_load_b32 v103, v[16:17], off offset:3144
	v_add_nc_u32_e32 v16, 0xcc, v71
	v_add_nc_u32_e32 v17, 0xffffffab, v71
	v_lshrrev_b32_e32 v131, 16, v42
	v_lshrrev_b32_e32 v133, 16, v34
	;; [unrolled: 1-line block ×3, first 2 shown]
	s_wait_dscnt 0x0
	v_lshrrev_b32_e32 v128, 16, v31
	v_cndmask_b32_e32 v16, v17, v16, vcc_lo
	v_lshrrev_b32_e32 v129, 16, v32
	s_delay_alu instid0(VALU_DEP_2) | instskip(SKIP_1) | instid1(VALU_DEP_2)
	v_mul_i32_i24_e32 v17, 20, v16
	v_mul_hi_i32_i24_e32 v16, 20, v16
	v_add_co_u32 v97, s0, s10, v17
	s_wait_alu 0xf1ff
	s_delay_alu instid0(VALU_DEP_2)
	v_add_co_ci_u32_e64 v98, s0, s11, v16, s0
	s_clause 0x1
	global_load_b128 v[16:19], v[97:98], off offset:1088
	global_load_b32 v97, v[97:98], off offset:1104
	v_lshrrev_b32_e32 v98, 16, v39
	s_wait_loadcnt 0x5
	v_lshrrev_b32_e32 v114, 16, v24
	v_lshrrev_b32_e32 v113, 16, v25
	;; [unrolled: 1-line block ×4, first 2 shown]
	s_wait_loadcnt 0x4
	v_lshrrev_b32_e32 v110, 16, v104
	s_wait_loadcnt 0x3
	v_lshrrev_b32_e32 v109, 16, v20
	v_lshrrev_b32_e32 v108, 16, v21
	;; [unrolled: 1-line block ×3, first 2 shown]
	s_wait_loadcnt 0x2
	v_lshrrev_b32_e32 v105, 16, v103
	v_lshrrev_b32_e32 v106, 16, v23
	v_mul_f16_e64 v134, v98, v114
	v_mul_f16_e64 v135, v39, v114
	v_mul_f16_e64 v136, v99, v113
	v_mul_f16_e64 v137, v35, v113
	v_mul_f16_e64 v138, v100, v112
	v_mul_f16_e64 v139, v41, v112
	v_mul_f16_e64 v140, v101, v111
	v_mul_f16_e64 v141, v37, v111
	v_mul_f16_e64 v142, v102, v110
	v_mul_f16_e64 v143, v33, v110
	v_mul_f16_e64 v144, v127, v109
	v_mul_f16_e64 v145, v40, v109
	v_mul_f16_e64 v146, v130, v108
	v_mul_f16_e64 v148, v131, v107
	v_mul_f16_e64 v149, v42, v107
	v_mul_f16_e64 v152, v133, v105
	v_mul_f16_e64 v153, v34, v105
	v_mul_f16_e64 v147, v36, v108
	v_mul_f16_e64 v150, v132, v106
	v_mul_f16_e64 v151, v38, v106
	v_fma_f16 v134, v39, v24, -v134
	v_fmac_f16_e64 v135, v98, v24
	v_fma_f16 v35, v35, v25, -v136
	v_fmac_f16_e64 v137, v99, v25
	;; [unrolled: 2-line block ×6, first 2 shown]
	v_fma_f16 v33, v36, v21, -v146
	v_fma_f16 v36, v42, v22, -v148
	v_fmac_f16_e64 v149, v131, v22
	v_fma_f16 v40, v34, v103, -v152
	v_fmac_f16_e64 v153, v133, v103
	s_wait_loadcnt 0x1
	v_lshrrev_b32_e32 v101, 16, v18
	s_wait_loadcnt 0x0
	v_lshrrev_b32_e32 v100, 16, v97
	v_fmac_f16_e64 v147, v130, v21
	v_fma_f16 v38, v38, v23, -v150
	v_fmac_f16_e64 v151, v132, v23
	v_lshrrev_b32_e32 v99, 16, v16
	v_add_f16_e32 v42, v31, v35
	v_add_f16_e32 v127, v35, v41
	v_sub_f16_e64 v130, v137, v141
	v_add_f16_e64 v131, v128, v137
	v_add_f16_e64 v132, v137, v141
	v_add_f16_e64 v137, v134, v39
	v_add_f16_e64 v140, v39, v136
	v_sub_f16_e64 v142, v139, v143
	v_add_f16_e64 v144, v135, v139
	v_add_f16_e64 v139, v139, v143
	v_sub_f16_e64 v146, v39, v136
	v_add_f16_e32 v39, v32, v33
	v_add_f16_e64 v155, v138, v36
	v_add_f16_e64 v156, v36, v40
	v_sub_f16_e64 v157, v149, v153
	v_add_f16_e64 v158, v145, v149
	v_add_f16_e64 v149, v149, v153
	v_sub_f16_e64 v159, v36, v40
	v_mul_f16_e64 v162, v122, v101
	v_mul_f16_e32 v36, v116, v101
	v_mul_f16_e64 v164, v126, v100
	v_mul_f16_e32 v34, v125, v100
	v_lshrrev_b32_e32 v102, 16, v17
	v_lshrrev_b32_e32 v98, 16, v19
	v_sub_f16_e64 v133, v35, v41
	v_add_f16_e64 v148, v33, v38
	v_sub_f16_e64 v154, v33, v38
	v_mul_f16_e64 v160, v124, v99
	v_mul_f16_e32 v35, v121, v99
	v_add_f16_e32 v42, v42, v41
	v_fma_f16 v165, -0.5, v127, v31
	v_add_f16_e64 v127, v131, v141
	v_fmac_f16_e64 v128, -0.5, v132
	v_add_f16_e64 v131, v137, v136
	v_fmac_f16_e64 v134, -0.5, v140
	;; [unrolled: 2-line block ×4, first 2 shown]
	v_fmac_f16_e64 v145, -0.5, v149
	v_fma_f16 v41, v116, v18, -v162
	v_fmac_f16_e32 v36, v122, v18
	v_fma_f16 v38, v125, v97, -v164
	v_fmac_f16_e32 v34, v126, v97
	v_sub_f16_e64 v150, v147, v151
	v_add_f16_e64 v152, v129, v147
	v_mul_f16_e64 v161, v123, v102
	v_mul_f16_e32 v37, v119, v102
	v_mul_f16_e64 v163, v120, v98
	v_mul_f16_e32 v33, v115, v98
	v_fmac_f16_e64 v32, -0.5, v148
	v_fma_f16 v39, v121, v16, -v160
	v_fmac_f16_e32 v35, v124, v16
	v_fma_f16 v116, 0xbaee, v133, v128
	v_fmac_f16_e64 v128, 0x3aee, v133
	v_fma_f16 v122, 0x3aee, v142, v134
	v_fma_f16 v125, 0xbaee, v146, v135
	v_fmac_f16_e64 v135, 0x3aee, v146
	v_add_f16_e64 v124, v127, v132
	v_sub_f16_e64 v126, v42, v131
	v_sub_f16_e64 v127, v127, v132
	v_fma_f16 v132, 0x3aee, v157, v138
	v_fmac_f16_e64 v138, 0xbaee, v157
	v_fma_f16 v133, 0xbaee, v159, v145
	v_add_f16_e64 v143, v41, v38
	v_add_f16_e64 v144, v36, v34
	;; [unrolled: 1-line block ×3, first 2 shown]
	v_fmac_f16_e64 v134, 0xbaee, v142
	v_add_f16_e64 v137, v152, v151
	v_add_f16_e64 v139, v155, v40
	;; [unrolled: 1-line block ×3, first 2 shown]
	v_fma_f16 v40, v119, v17, -v161
	v_fmac_f16_e32 v37, v123, v17
	v_fma_f16 v31, v115, v19, -v163
	v_fmac_f16_e32 v33, v120, v19
	v_fma_f16 v115, 0x3aee, v130, v165
	v_fmac_f16_e64 v165, 0xbaee, v130
	v_fma_f16 v130, 0x3aee, v150, v32
	v_fmac_f16_e64 v32, 0xbaee, v150
	v_fmac_f16_e64 v145, 0x3aee, v159
	v_sub_f16_e32 v120, v36, v34
	v_sub_f16_e32 v121, v41, v38
	v_mul_f16_e64 v146, 0x3aee, v125
	v_mul_f16_e64 v148, 0xbaee, v122
	v_mul_f16_e64 v149, -0.5, v135
	v_mul_f16_e64 v150, 0x3aee, v133
	v_mul_f16_e64 v151, -0.5, v138
	v_mul_f16_e64 v152, 0xbaee, v132
	v_pack_b32_f16 v155, v126, v127
	v_fma_f16 v127, -0.5, v143, v39
	v_fma_f16 v126, -0.5, v144, v35
	v_fmac_f16_e64 v129, -0.5, v147
	v_mul_f16_e64 v147, -0.5, v134
	v_add_f16_e64 v123, v42, v131
	v_add_f16_e64 v141, v136, v139
	;; [unrolled: 1-line block ×3, first 2 shown]
	v_sub_f16_e64 v136, v136, v139
	v_sub_f16_e64 v137, v137, v140
	v_add_f16_e64 v139, v40, v31
	v_add_f16_e64 v140, v37, v33
	v_mul_f16_e64 v153, -0.5, v145
	v_fmac_f16_e64 v146, 0.5, v122
	v_fmac_f16_e64 v148, 0.5, v125
	v_fmac_f16_e64 v149, 0xbaee, v134
	v_fmac_f16_e64 v150, 0.5, v132
	v_fmac_f16_e64 v151, 0x3aee, v145
	v_fmac_f16_e64 v152, 0.5, v133
	v_fma_f16 v132, 0xbaee, v120, v127
	v_fma_f16 v133, 0x3aee, v121, v126
	v_fmac_f16_e64 v147, 0x3aee, v135
	v_fma_f16 v131, 0xbaee, v154, v129
	v_fmac_f16_e64 v129, 0x3aee, v154
	v_sub_f16_e32 v42, v37, v33
	v_sub_f16_e32 v119, v40, v31
	v_pack_b32_f16 v154, v123, v124
	v_pack_b32_f16 v136, v136, v137
	v_fma_f16 v123, -0.5, v139, v117
	v_fma_f16 v124, -0.5, v140, v118
	v_fmac_f16_e64 v153, 0xbaee, v138
	v_add_f16_e64 v134, v115, v146
	v_add_f16_e64 v137, v116, v148
	;; [unrolled: 1-line block ×3, first 2 shown]
	v_sub_f16_e64 v115, v115, v146
	v_sub_f16_e64 v140, v128, v149
	v_add_f16_e64 v143, v32, v151
	v_sub_f16_e64 v146, v32, v151
	v_mul_f16_e64 v32, -0.5, v132
	v_mul_f16_e64 v128, -0.5, v133
	v_add_f16_e64 v135, v165, v147
	v_sub_f16_e64 v116, v116, v148
	v_sub_f16_e64 v139, v165, v147
	v_pack_b32_f16 v141, v141, v142
	v_fmamk_f16 v122, v42, 0xbaee, v123
	v_fmamk_f16 v125, v119, 0x3aee, v124
	v_add_f16_e64 v142, v130, v150
	v_add_f16_e64 v144, v131, v152
	v_pack_b32_f16 v134, v134, v137
	v_fmac_f16_e64 v32, 0x3aee, v133
	v_fmac_f16_e64 v128, 0xbaee, v132
	v_add_f16_e64 v145, v129, v153
	v_pack_b32_f16 v135, v135, v138
	v_sub_f16_e64 v130, v130, v150
	v_sub_f16_e64 v131, v131, v152
	v_pack_b32_f16 v115, v115, v116
	v_sub_f16_e64 v129, v129, v153
	v_pack_b32_f16 v116, v139, v140
	v_pack_b32_f16 v137, v142, v144
	ds_store_b32 v43, v134 offset:1156
	ds_store_b32 v43, v135 offset:2312
	;; [unrolled: 1-line block ×5, first 2 shown]
	ds_store_2addr_b32 v43, v154, v141 offset1:102
	v_sub_f16_e32 v115, v122, v32
	v_sub_f16_e64 v116, v125, v128
	v_pack_b32_f16 v138, v143, v145
	v_pack_b32_f16 v130, v130, v131
	;; [unrolled: 1-line block ×3, first 2 shown]
	ds_store_b32 v43, v137 offset:1564
	ds_store_b32 v43, v138 offset:2720
	;; [unrolled: 1-line block ×5, first 2 shown]
	s_and_saveexec_b32 s0, vcc_lo
	s_cbranch_execz .LBB0_5
; %bb.4:
	v_mul_f16_e32 v120, 0x3aee, v120
	v_mul_f16_e32 v121, 0x3aee, v121
	v_add_f16_e32 v37, v118, v37
	v_add_f16_e32 v35, v35, v36
	;; [unrolled: 1-line block ×5, first 2 shown]
	v_sub_f16_e32 v40, v126, v121
	v_mul_f16_e32 v42, 0x3aee, v42
	v_mul_f16_e32 v119, 0x3aee, v119
	;; [unrolled: 1-line block ×3, first 2 shown]
	v_add_f16_e32 v33, v37, v33
	v_add_f16_e32 v34, v35, v34
	;; [unrolled: 1-line block ×4, first 2 shown]
	v_fma_f16 v37, v40, 0.5, -v41
	v_mul_f16_e32 v40, 0x3aee, v40
	v_sub_f16_e32 v117, v124, v119
	v_add_f16_e32 v35, v42, v123
	v_sub_f16_e32 v38, v33, v34
	v_add_f16_e32 v33, v33, v34
	v_fmac_f16_e32 v40, 0.5, v118
	v_add_f16_e32 v34, v31, v36
	v_sub_f16_e32 v39, v117, v37
	v_add_f16_e32 v37, v117, v37
	v_add_f16_e64 v41, v125, v128
	v_add_f16_e32 v42, v35, v40
	v_add_f16_e32 v32, v122, v32
	v_sub_f16_e32 v31, v31, v36
	v_sub_f16_e32 v35, v35, v40
	v_pack_b32_f16 v33, v34, v33
	v_pack_b32_f16 v34, v42, v37
	v_pack_b32_f16 v32, v32, v41
	v_pack_b32_f16 v31, v31, v38
	v_pack_b32_f16 v35, v35, v39
	v_perm_b32 v36, v116, v115, 0x5040100
	ds_store_b32 v43, v33 offset:816
	ds_store_b32 v43, v34 offset:1972
	;; [unrolled: 1-line block ×6, first 2 shown]
.LBB0_5:
	s_wait_alu 0xfffe
	s_or_b32 exec_lo, exec_lo, s0
	s_add_nc_u64 s[0:1], s[8:9], 0x1b18
	global_wb scope:SCOPE_SE
	s_wait_dscnt 0x0
	s_barrier_signal -1
	s_barrier_wait -1
	global_inv scope:SCOPE_SE
	s_clause 0x10
	global_load_b32 v31, v[29:30], off offset:6936
	global_load_b32 v32, v43, s[0:1] offset:408
	global_load_b32 v124, v43, s[0:1] offset:1224
	;; [unrolled: 1-line block ×16, first 2 shown]
	ds_load_2addr_b32 v[29:30], v43 offset1:102
	v_add_nc_u32_e32 v122, 0x200, v43
	v_add_nc_u32_e32 v117, 0x400, v43
	;; [unrolled: 1-line block ×7, first 2 shown]
	s_wait_dscnt 0x0
	v_lshrrev_b32_e32 v33, 16, v29
	v_lshrrev_b32_e32 v35, 16, v30
	s_wait_loadcnt 0x10
	v_lshrrev_b32_e32 v34, 16, v31
	s_wait_loadcnt 0xf
	;; [unrolled: 2-line block ×5, first 2 shown]
	v_lshrrev_b32_e32 v141, 16, v126
	v_mul_f16_e32 v37, v33, v34
	v_mul_f16_e32 v34, v29, v34
	;; [unrolled: 1-line block ×4, first 2 shown]
	s_wait_loadcnt 0xb
	v_lshrrev_b32_e32 v142, 16, v127
	v_fma_f16 v29, v29, v31, -v37
	v_fmac_f16_e32 v34, v33, v31
	v_fma_f16 v30, v30, v32, -v38
	v_fmac_f16_e32 v36, v35, v32
	s_wait_loadcnt 0xa
	v_lshrrev_b32_e32 v143, 16, v128
	s_wait_loadcnt 0x1
	v_lshrrev_b32_e32 v153, 16, v137
	v_pack_b32_f16 v29, v29, v34
	v_lshrrev_b32_e32 v144, 16, v129
	v_pack_b32_f16 v30, v30, v36
	v_lshrrev_b32_e32 v145, 16, v130
	v_lshrrev_b32_e32 v146, 16, v131
	;; [unrolled: 1-line block ×4, first 2 shown]
	ds_store_2addr_b32 v43, v29, v30 offset1:102
	ds_load_2addr_b32 v[29:30], v122 offset0:76 offset1:178
	ds_load_2addr_b32 v[31:32], v117 offset0:152 offset1:254
	;; [unrolled: 1-line block ×4, first 2 shown]
	ds_load_b32 v152, v43 offset:6528
	ds_load_2addr_b32 v[37:38], v123 offset0:124 offset1:226
	ds_load_2addr_b32 v[39:40], v120 offset0:72 offset1:174
	;; [unrolled: 1-line block ×3, first 2 shown]
	v_lshrrev_b32_e32 v149, 16, v134
	v_lshrrev_b32_e32 v150, 16, v135
	v_lshrrev_b32_e32 v151, 16, v136
	s_wait_loadcnt 0x0
	v_lshrrev_b32_e32 v154, 16, v138
	s_wait_dscnt 0x7
	v_lshrrev_b32_e32 v155, 16, v29
	v_lshrrev_b32_e32 v157, 16, v30
	s_wait_dscnt 0x6
	v_lshrrev_b32_e32 v159, 16, v31
	;; [unrolled: 3-line block ×7, first 2 shown]
	v_lshrrev_b32_e32 v181, 16, v42
	v_lshrrev_b32_e32 v183, 16, v152
	v_mul_f16_e64 v156, v29, v153
	v_mul_f16_e64 v158, v30, v139
	v_mul_f16_e64 v153, v155, v153
	v_mul_f16_e64 v139, v157, v139
	v_mul_f16_e64 v160, v31, v140
	v_mul_f16_e64 v162, v32, v141
	v_mul_f16_e64 v140, v159, v140
	v_mul_f16_e64 v141, v161, v141
	v_mul_f16_e64 v164, v33, v142
	v_mul_f16_e64 v166, v34, v143
	v_mul_f16_e64 v142, v163, v142
	v_mul_f16_e64 v143, v165, v143
	v_mul_f16_e64 v168, v35, v144
	v_mul_f16_e64 v170, v36, v145
	v_mul_f16_e64 v144, v167, v144
	v_mul_f16_e64 v145, v169, v145
	v_mul_f16_e64 v172, v37, v146
	v_mul_f16_e64 v174, v38, v147
	v_mul_f16_e64 v176, v39, v148
	v_mul_f16_e64 v178, v40, v149
	v_mul_f16_e64 v180, v41, v150
	v_mul_f16_e64 v182, v42, v151
	v_mul_f16_e64 v184, v152, v154
	v_mul_f16_e64 v146, v171, v146
	v_mul_f16_e64 v147, v173, v147
	v_mul_f16_e64 v148, v175, v148
	v_mul_f16_e64 v149, v177, v149
	v_mul_f16_e64 v150, v179, v150
	v_mul_f16_e64 v151, v181, v151
	v_mul_f16_e64 v154, v183, v154
	v_fmac_f16_e64 v156, v155, v137
	v_fmac_f16_e64 v158, v157, v124
	v_fma_f16 v29, v29, v137, -v153
	v_fma_f16 v30, v30, v124, -v139
	v_fmac_f16_e64 v160, v159, v125
	v_fmac_f16_e64 v162, v161, v126
	v_fma_f16 v31, v31, v125, -v140
	v_fma_f16 v32, v32, v126, -v141
	;; [unrolled: 4-line block ×4, first 2 shown]
	v_fmac_f16_e64 v172, v171, v131
	v_fmac_f16_e64 v174, v173, v132
	;; [unrolled: 1-line block ×7, first 2 shown]
	v_fma_f16 v37, v37, v131, -v146
	v_fma_f16 v38, v38, v132, -v147
	;; [unrolled: 1-line block ×7, first 2 shown]
	v_pack_b32_f16 v29, v29, v156
	v_pack_b32_f16 v30, v30, v158
	;; [unrolled: 1-line block ×15, first 2 shown]
	ds_store_2addr_b32 v122, v29, v30 offset0:76 offset1:178
	ds_store_2addr_b32 v117, v31, v32 offset0:152 offset1:254
	;; [unrolled: 1-line block ×7, first 2 shown]
	ds_store_b32 v43, v124 offset:6528
	global_wb scope:SCOPE_SE
	s_wait_dscnt 0x0
	s_barrier_signal -1
	s_barrier_wait -1
	global_inv scope:SCOPE_SE
	ds_load_2addr_b32 v[41:42], v43 offset1:102
	ds_load_b32 v124, v43 offset:6528
	ds_load_2addr_b32 v[39:40], v121 offset0:148 offset1:250
	ds_load_2addr_b32 v[125:126], v122 offset0:76 offset1:178
	;; [unrolled: 1-line block ×7, first 2 shown]
	global_wb scope:SCOPE_SE
	s_wait_dscnt 0x0
	s_barrier_signal -1
	s_barrier_wait -1
	global_inv scope:SCOPE_SE
	v_pk_add_f16 v127, v41, v42
	v_pk_add_f16 v128, v124, v42
	v_pk_add_f16 v42, v42, v124 neg_lo:[0,1] neg_hi:[0,1]
	v_pk_add_f16 v130, v40, v125
	v_pk_add_f16 v131, v125, v40 neg_lo:[0,1] neg_hi:[0,1]
	v_pk_add_f16 v125, v127, v125
	v_pk_add_f16 v134, v36, v37
	v_pk_add_f16 v135, v37, v36 neg_lo:[0,1] neg_hi:[0,1]
	v_pk_mul_f16 v127, 0xb5c8, v42 op_sel_hi:[0,1]
	v_lshrrev_b32_e32 v136, 16, v42
	v_pk_add_f16 v125, v125, v126
	v_lshrrev_b32_e32 v137, 16, v128
	v_pk_add_f16 v132, v39, v126
	v_pk_add_f16 v133, v126, v39 neg_lo:[0,1] neg_hi:[0,1]
	v_pk_mul_f16 v138, 0xb964, v131 op_sel_hi:[0,1]
	v_pk_add_f16 v37, v125, v37
	v_lshrrev_b32_e32 v139, 16, v131
	v_lshrrev_b32_e32 v140, 16, v130
	v_pk_fma_f16 v126, 0x3b76, v128, v127 op_sel:[0,0,1] op_sel_hi:[0,1,0]
	v_pk_fma_f16 v127, 0x3b76, v128, v127 op_sel:[0,0,1] op_sel_hi:[0,1,0] neg_lo:[0,0,1] neg_hi:[0,0,1]
	v_pk_add_f16 v37, v37, v38
	v_mul_f16_e64 v147, 0xb964, v136
	v_mul_f16_e64 v149, 0xbb29, v136
	;; [unrolled: 1-line block ×3, first 2 shown]
	v_lshrrev_b32_e32 v129, 16, v41
	v_pk_add_f16 v37, v37, v31
	v_lshrrev_b32_e32 v142, 16, v133
	v_lshrrev_b32_e32 v143, 16, v132
	v_mul_f16_e64 v148, 0x39e9, v137
	v_mul_f16_e64 v150, 0x3722, v137
	v_pk_add_f16 v37, v37, v32
	v_mul_f16_e64 v151, 0xbbf7, v136
	v_mul_f16_e64 v153, 0xbbb2, v136
	;; [unrolled: 1-line block ×4, first 2 shown]
	v_pk_add_f16 v37, v37, v29
	v_mul_f16_e64 v156, 0xb8d2, v137
	v_mul_f16_e64 v157, 0xb836, v136
	;; [unrolled: 1-line block ×4, first 2 shown]
	v_pk_add_f16 v37, v37, v30
	v_mul_f16_e64 v137, 0xbbdd, v137
	v_pk_fma_f16 v159, 0x39e9, v130, v138 op_sel:[0,0,1] op_sel_hi:[0,1,0]
	v_pk_fma_f16 v138, 0x39e9, v130, v138 op_sel:[0,0,1] op_sel_hi:[0,1,0] neg_lo:[0,0,1] neg_hi:[0,0,1]
	v_mul_f16_e64 v160, 0xbbf7, v139
	v_pk_add_f16 v37, v37, v33
	v_mul_f16_e64 v162, 0xba62, v139
	v_mul_f16_e64 v165, 0xbbdd, v140
	v_bfi_b32 v125, 0xffff, v126, v127
	v_fma_f16 v193, 0x39e9, v128, v147
	v_pk_add_f16 v37, v37, v34
	v_fma_f16 v147, v128, 0x39e9, -v147
	v_fma_f16 v195, 0x3722, v128, v149
	v_fma_f16 v198, 0x3bf7, v42, v152
	v_pk_mul_f16 v141, 0xbb29, v133 op_sel_hi:[0,1]
	v_pk_add_f16 v37, v37, v35
	v_lshrrev_b32_e32 v145, 16, v135
	v_lshrrev_b32_e32 v146, 16, v134
	v_mul_f16_e64 v161, 0x2de8, v140
	v_mul_f16_e64 v163, 0xb8d2, v140
	v_pk_add_f16 v36, v37, v36
	v_mul_f16_e64 v164, 0xb1e1, v139
	v_mul_f16_e64 v166, 0x3836, v139
	;; [unrolled: 1-line block ×9, first 2 shown]
	v_pk_add_f16 v127, v41, v127
	v_pk_add_f16 v126, v41, v126
	v_fma_f16 v194, 0x3964, v42, v148
	v_fmac_f16_e64 v148, 0xb964, v42
	v_fma_f16 v196, 0x3b29, v42, v150
	v_fma_f16 v149, v128, 0x3722, -v149
	v_fmac_f16_e64 v150, 0xbb29, v42
	v_fma_f16 v197, 0x2de8, v128, v151
	v_fma_f16 v151, v128, 0x2de8, -v151
	v_fmac_f16_e64 v152, 0xbbf7, v42
	v_fma_f16 v199, 0xb461, v128, v153
	v_fma_f16 v200, 0x3bb2, v42, v154
	v_fma_f16 v153, v128, 0xb461, -v153
	v_fmac_f16_e64 v154, 0xbbb2, v42
	v_fma_f16 v201, 0xb8d2, v128, v155
	;; [unrolled: 4-line block ×4, first 2 shown]
	v_fma_f16 v206, 0x31e1, v42, v137
	v_fma_f16 v128, v128, 0xbbdd, -v136
	v_fmac_f16_e64 v137, 0xb1e1, v42
	v_bfi_b32 v42, 0xffff, v159, v138
	v_fma_f16 v136, 0x2de8, v130, v160
	v_fma_f16 v160, v130, 0x2de8, -v160
	v_fma_f16 v208, 0xb8d2, v130, v162
	v_fma_f16 v211, 0x31e1, v131, v165
	v_pk_add_f16 v125, v41, v125
	v_add_f16_e64 v193, v41, v193
	v_add_f16_e64 v147, v41, v147
	;; [unrolled: 1-line block ×4, first 2 shown]
	v_pk_add_f16 v36, v36, v39
	v_pk_mul_f16 v144, 0xbbf7, v135 op_sel_hi:[0,1]
	v_mul_f16_e64 v169, 0xb461, v140
	v_mul_f16_e64 v171, 0x3722, v140
	;; [unrolled: 1-line block ×3, first 2 shown]
	v_pk_fma_f16 v172, 0x3722, v132, v141 op_sel:[0,0,1] op_sel_hi:[0,1,0]
	v_pk_fma_f16 v141, 0x3722, v132, v141 op_sel:[0,0,1] op_sel_hi:[0,1,0] neg_lo:[0,0,1] neg_hi:[0,0,1]
	v_mul_f16_e64 v177, 0x3bb2, v142
	v_mul_f16_e64 v179, 0x3964, v142
	;; [unrolled: 1-line block ×9, first 2 shown]
	v_fma_f16 v207, 0x3bf7, v131, v161
	v_fmac_f16_e64 v161, 0xbbf7, v131
	v_fma_f16 v209, 0x3a62, v131, v163
	v_fma_f16 v162, v130, 0xb8d2, -v162
	v_fmac_f16_e64 v163, 0xba62, v131
	v_fma_f16 v210, 0xbbdd, v130, v164
	v_fma_f16 v164, v130, 0xbbdd, -v164
	v_fmac_f16_e64 v165, 0xb1e1, v131
	v_fma_f16 v212, 0xbacd, v130, v166
	v_fma_f16 v213, 0xb836, v131, v167
	v_fma_f16 v166, v130, 0xbacd, -v166
	v_fmac_f16_e64 v167, 0x3836, v131
	v_fma_f16 v214, 0xb461, v130, v168
	v_fma_f16 v168, v130, 0xb461, -v168
	v_fma_f16 v216, 0x3722, v130, v170
	v_fma_f16 v170, v130, 0x3722, -v170
	;; [unrolled: 2-line block ×4, first 2 shown]
	v_fma_f16 v221, 0xbbdd, v132, v175
	v_fma_f16 v224, 0xbbb2, v133, v178
	v_add_f16_e64 v148, v129, v148
	v_add_f16_e64 v149, v41, v149
	;; [unrolled: 1-line block ×15, first 2 shown]
	v_pk_add_f16 v127, v138, v127
	v_pk_add_f16 v126, v159, v126
	;; [unrolled: 1-line block ×3, first 2 shown]
	v_add_f16_e64 v125, v136, v193
	v_add_f16_e64 v136, v160, v147
	;; [unrolled: 1-line block ×4, first 2 shown]
	v_pk_add_f16 v36, v36, v40
	v_mul_f16_e64 v174, 0xb8d2, v143
	v_mul_f16_e64 v176, 0xbbdd, v143
	;; [unrolled: 1-line block ×5, first 2 shown]
	v_pk_fma_f16 v185, 0x2de8, v134, v144 op_sel:[0,0,1] op_sel_hi:[0,1,0]
	v_pk_fma_f16 v144, 0x2de8, v134, v144 op_sel:[0,0,1] op_sel_hi:[0,1,0] neg_lo:[0,0,1] neg_hi:[0,0,1]
	v_mul_f16_e64 v190, 0x35c8, v145
	v_fma_f16 v215, 0xbbb2, v131, v169
	v_fmac_f16_e64 v169, 0x3bb2, v131
	v_fma_f16 v217, 0xbb29, v131, v171
	v_fmac_f16_e64 v171, 0x3b29, v131
	;; [unrolled: 2-line block ×3, first 2 shown]
	v_bfi_b32 v131, 0xffff, v172, v141
	v_fma_f16 v175, v132, 0xbbdd, -v175
	v_fma_f16 v223, 0xb461, v132, v177
	v_fma_f16 v177, v132, 0xb461, -v177
	v_fmac_f16_e64 v178, 0x3bb2, v133
	v_fma_f16 v225, 0x39e9, v132, v179
	v_fma_f16 v226, 0xb964, v133, v180
	v_fma_f16 v179, v132, 0x39e9, -v179
	v_fmac_f16_e64 v180, 0x3964, v133
	v_fma_f16 v227, 0x3b76, v132, v181
	v_fma_f16 v181, v132, 0x3b76, -v181
	v_fma_f16 v229, 0x2de8, v132, v183
	v_fma_f16 v183, v132, 0x2de8, -v183
	;; [unrolled: 2-line block ×4, first 2 shown]
	v_fma_f16 v234, 0xb461, v134, v188
	v_fma_f16 v237, 0xb5c8, v135, v191
	v_add_f16_e64 v194, v129, v194
	v_add_f16_e64 v196, v129, v196
	;; [unrolled: 1-line block ×10, first 2 shown]
	v_pk_add_f16 v127, v141, v127
	v_add_f16_e64 v130, v173, v136
	v_add_f16_e64 v136, v221, v138
	v_add_f16_e64 v141, v224, v159
	v_pk_add_f16 v36, v36, v124
	v_mul_f16_e64 v124, 0x3722, v146
	v_mul_f16_e64 v187, 0xbbdd, v146
	;; [unrolled: 1-line block ×4, first 2 shown]
	v_fma_f16 v220, 0x3a62, v133, v174
	v_fmac_f16_e64 v174, 0xba62, v133
	v_fma_f16 v222, 0xb1e1, v133, v176
	v_fmac_f16_e64 v176, 0x31e1, v133
	;; [unrolled: 2-line block ×5, first 2 shown]
	v_bfi_b32 v133, 0xffff, v185, v144
	v_fma_f16 v188, v134, 0xb461, -v188
	v_fma_f16 v236, 0x3b76, v134, v190
	v_add_f16_e64 v200, v129, v200
	v_add_f16_e64 v202, v129, v202
	;; [unrolled: 1-line block ×11, first 2 shown]
	v_pk_add_f16 v42, v131, v42
	v_add_f16_e64 v138, v175, v148
	v_add_f16_e64 v140, v223, v150
	;; [unrolled: 1-line block ×7, first 2 shown]
	v_fma_f16 v141, 0x3b29, v135, v124
	v_fmac_f16_e64 v124, 0xbb29, v135
	v_fma_f16 v233, 0x31e1, v135, v187
	v_fmac_f16_e64 v187, 0xb1e1, v135
	v_fma_f16 v235, 0xbbb2, v135, v189
	v_fma_f16 v190, v134, 0x3b76, -v190
	v_add_f16_e64 v161, v213, v200
	v_add_f16_e64 v153, v166, v153
	v_add_f16_e64 v162, v214, v201
	v_add_f16_e64 v155, v168, v155
	v_add_f16_e64 v156, v169, v156
	v_pk_add_f16 v126, v172, v126
	v_add_f16_e64 v125, v139, v125
	v_add_f16_e64 v129, v220, v129
	;; [unrolled: 1-line block ×7, first 2 shown]
	v_pk_add_f16 v127, v144, v127
	v_pk_add_f16 v42, v133, v42
	v_add_f16_e64 v40, v188, v138
	v_add_f16_e64 v133, v236, v140
	v_fma_f16 v138, 0x3722, v134, v192
	v_mul_f16_e64 v140, 0xb836, v145
	v_mul_f16_e64 v144, 0xbacd, v146
	v_add_f16_e64 v124, v124, v152
	v_pk_add_f16 v152, v38, v35 neg_lo:[0,1] neg_hi:[0,1]
	v_fmac_f16_e64 v189, 0x3bb2, v135
	v_fmac_f16_e64 v191, 0x35c8, v135
	v_add_f16_e64 v163, v215, v202
	v_add_f16_e64 v157, v170, v157
	;; [unrolled: 1-line block ×8, first 2 shown]
	v_pk_add_f16 v37, v185, v126
	v_add_f16_e64 v126, v233, v129
	v_add_f16_e64 v129, v187, v131
	;; [unrolled: 1-line block ×5, first 2 shown]
	v_fma_f16 v143, 0xbacd, v134, v140
	v_mul_f16_e64 v147, 0x3a62, v145
	v_fma_f16 v149, 0x3836, v135, v144
	v_fma_f16 v140, v134, 0xbacd, -v140
	v_fmac_f16_e64 v144, 0xb836, v135
	v_mul_f16_e64 v145, 0x3964, v145
	v_pk_add_f16 v35, v35, v38
	v_pk_mul_f16 v38, 0xbbb2, v152 op_sel_hi:[0,1]
	v_add_f16_e64 v154, v228, v163
	v_add_f16_e64 v157, v183, v157
	;; [unrolled: 1-line block ×6, first 2 shown]
	v_fma_f16 v142, v134, 0x3722, -v192
	v_add_f16_e64 v141, v141, v150
	v_add_f16_e64 v143, v143, v153
	v_mul_f16_e64 v148, 0xb8d2, v146
	v_fma_f16 v150, 0xb8d2, v134, v147
	v_add_f16_e64 v140, v140, v155
	v_add_f16_e64 v144, v144, v156
	v_fma_f16 v147, v134, 0xb8d2, -v147
	v_mul_f16_e64 v146, 0x39e9, v146
	v_fma_f16 v153, 0x39e9, v134, v145
	v_pk_fma_f16 v155, 0xb461, v35, v38 op_sel:[0,0,1] op_sel_hi:[0,1,0]
	v_pk_fma_f16 v38, 0xb461, v35, v38 op_sel:[0,0,1] op_sel_hi:[0,1,0] neg_lo:[0,0,1] neg_hi:[0,0,1]
	v_lshrrev_b32_e32 v156, 16, v152
	v_fma_f16 v134, v134, 0x39e9, -v145
	v_lshrrev_b32_e32 v145, 16, v35
	v_add_f16_e64 v142, v142, v151
	v_fma_f16 v151, 0xba62, v135, v148
	v_add_f16_e64 v149, v149, v154
	v_fmac_f16_e64 v148, 0x3a62, v135
	v_add_f16_e64 v147, v147, v157
	v_fma_f16 v154, 0xb964, v135, v146
	v_fmac_f16_e64 v146, 0x3964, v135
	v_bfi_b32 v135, 0xffff, v155, v38
	v_mul_f16_e64 v157, 0x3836, v156
	v_add_f16_e64 v41, v134, v41
	v_mul_f16_e64 v134, 0xbacd, v145
	v_add_f16_e64 v128, v146, v128
	v_pk_add_f16 v42, v135, v42
	v_fma_f16 v135, 0xbacd, v35, v157
	v_pk_add_f16 v38, v38, v127
	v_mul_f16_e64 v127, 0x3964, v156
	v_fma_f16 v146, 0xb836, v152, v134
	v_pk_add_f16 v37, v155, v37
	v_add_f16_e64 v125, v135, v125
	v_fma_f16 v135, v35, 0xbacd, -v157
	v_fmac_f16_e64 v134, 0x3836, v152
	v_fma_f16 v155, 0x39e9, v35, v127
	v_add_f16_e64 v126, v146, v126
	v_mul_f16_e64 v146, 0x39e9, v145
	v_add_f16_e64 v39, v135, v39
	v_add_f16_e64 v129, v134, v129
	;; [unrolled: 1-line block ×3, first 2 shown]
	v_mul_f16_e64 v134, 0xbb29, v156
	v_fma_f16 v135, 0xb964, v152, v146
	v_fma_f16 v127, v35, 0x39e9, -v127
	v_fmac_f16_e64 v146, 0x3964, v152
	v_mul_f16_e64 v155, 0x3722, v145
	v_fma_f16 v157, 0x3722, v35, v134
	v_add_f16_e64 v131, v135, v131
	v_add_f16_e32 v40, v127, v40
	v_add_f16_e64 v127, v146, v132
	v_fma_f16 v132, 0x3b29, v152, v155
	v_fma_f16 v134, v35, 0x3722, -v134
	v_mul_f16_e64 v135, 0xb1e1, v156
	v_fmac_f16_e64 v155, 0xbb29, v152
	v_mul_f16_e64 v146, 0x3bf7, v156
	v_add_f16_e64 v132, v132, v136
	v_mul_f16_e64 v136, 0xbbdd, v145
	v_add_f16_e64 v134, v134, v137
	v_fma_f16 v137, 0xbbdd, v35, v135
	v_add_f16_e64 v164, v216, v203
	v_add_f16_e64 v165, v217, v204
	v_add_f16_e64 v158, v171, v158
	v_add_f16_e64 v139, v155, v139
	v_fma_f16 v155, 0x31e1, v152, v136
	v_fma_f16 v135, v35, 0xbbdd, -v135
	v_add_f16_e64 v137, v137, v138
	v_fmac_f16_e64 v136, 0xb1e1, v152
	v_fma_f16 v138, 0x2de8, v35, v146
	v_add_f16_e64 v159, v229, v164
	v_add_f16_e64 v160, v230, v165
	;; [unrolled: 1-line block ×4, first 2 shown]
	v_mul_f16_e64 v142, 0x2de8, v145
	v_add_f16_e64 v124, v136, v124
	v_add_f16_e64 v136, v138, v143
	v_mul_f16_e64 v138, 0xb5c8, v156
	v_mul_f16_e64 v143, 0x3b76, v145
	v_add_f16_e64 v166, v218, v205
	v_add_f16_e64 v167, v219, v206
	;; [unrolled: 1-line block ×7, first 2 shown]
	v_fma_f16 v155, 0xbbf7, v152, v142
	v_fma_f16 v146, v35, 0x2de8, -v146
	v_fmac_f16_e64 v142, 0x3bf7, v152
	v_fma_f16 v157, 0x3b76, v35, v138
	v_fma_f16 v158, 0x35c8, v152, v143
	v_add_f16_e64 v161, v231, v166
	v_add_f16_e64 v162, v232, v167
	;; [unrolled: 1-line block ×6, first 2 shown]
	v_mul_f16_e64 v150, 0xba62, v156
	v_fma_f16 v138, v35, 0x3b76, -v138
	v_pk_add_f16 v151, v31, v34 neg_lo:[0,1] neg_hi:[0,1]
	v_mul_f16_e64 v145, 0xb8d2, v145
	v_add_f16_e64 v153, v153, v161
	v_add_f16_e64 v154, v154, v162
	v_add_f16_e64 v149, v155, v149
	v_fmac_f16_e64 v143, 0xb5c8, v152
	v_fma_f16 v155, 0xb8d2, v35, v150
	v_pk_add_f16 v31, v34, v31
	v_pk_mul_f16 v34, 0xba62, v151 op_sel_hi:[0,1]
	v_add_f16_e64 v138, v138, v147
	v_fma_f16 v147, 0x3a62, v152, v145
	v_add_f16_e64 v143, v143, v148
	v_add_f16_e64 v148, v155, v153
	v_pk_fma_f16 v153, 0xb8d2, v31, v34 op_sel:[0,0,1] op_sel_hi:[0,1,0]
	v_pk_fma_f16 v34, 0xb8d2, v31, v34 op_sel:[0,0,1] op_sel_hi:[0,1,0] neg_lo:[0,0,1] neg_hi:[0,0,1]
	v_add_f16_e64 v147, v147, v154
	v_lshrrev_b32_e32 v154, 16, v151
	v_fma_f16 v35, v35, 0xb8d2, -v150
	v_fmac_f16_e64 v145, 0xba62, v152
	v_lshrrev_b32_e32 v152, 16, v31
	v_bfi_b32 v150, 0xffff, v153, v34
	v_mul_f16_e64 v155, 0x3bb2, v154
	v_add_f16_e32 v35, v35, v41
	v_add_f16_e64 v41, v145, v128
	v_mul_f16_e64 v128, 0xb461, v152
	v_pk_add_f16 v42, v150, v42
	v_fma_f16 v145, 0xb461, v31, v155
	v_pk_add_f16 v34, v34, v38
	v_mul_f16_e64 v38, 0xb5c8, v154
	v_fma_f16 v150, 0xbbb2, v151, v128
	v_pk_add_f16 v37, v153, v37
	v_add_f16_e64 v125, v145, v125
	v_fma_f16 v145, v31, 0xb461, -v155
	v_fmac_f16_e64 v128, 0x3bb2, v151
	v_fma_f16 v153, 0x3b76, v31, v38
	v_add_f16_e64 v126, v150, v126
	v_mul_f16_e64 v150, 0x3b76, v152
	v_add_f16_e64 v39, v145, v39
	v_add_f16_e64 v128, v128, v129
	;; [unrolled: 1-line block ×3, first 2 shown]
	v_mul_f16_e64 v130, 0xb836, v154
	v_fma_f16 v145, 0x35c8, v151, v150
	v_fma_f16 v38, v31, 0x3b76, -v38
	v_fmac_f16_e64 v150, 0xb5c8, v151
	v_mul_f16_e64 v153, 0xbacd, v152
	v_fma_f16 v155, 0xbacd, v31, v130
	v_add_f16_e64 v131, v145, v131
	v_add_f16_e32 v38, v38, v40
	v_add_f16_e64 v40, v150, v127
	v_fma_f16 v127, 0x3836, v151, v153
	v_fma_f16 v130, v31, 0xbacd, -v130
	v_mul_f16_e64 v145, 0x3bf7, v154
	v_fmac_f16_e64 v153, 0xb836, v151
	v_mul_f16_e64 v150, 0xb964, v154
	v_add_f16_e64 v127, v127, v132
	v_mul_f16_e64 v132, 0x2de8, v152
	v_add_f16_e64 v130, v130, v134
	v_fma_f16 v134, 0x2de8, v31, v145
	v_add_f16_e64 v139, v153, v139
	v_fma_f16 v145, v31, 0x2de8, -v145
	v_fma_f16 v153, 0xbbf7, v151, v132
	v_fmac_f16_e64 v132, 0x3bf7, v151
	v_add_f16_e64 v134, v134, v137
	v_fma_f16 v137, 0x39e9, v31, v150
	v_add_f16_e64 v135, v145, v135
	v_mul_f16_e64 v145, 0x39e9, v152
	v_add_f16_e64 v124, v132, v124
	v_add_f16_e64 v141, v153, v141
	;; [unrolled: 1-line block ×3, first 2 shown]
	v_mul_f16_e64 v137, 0xbbdd, v152
	v_fma_f16 v153, 0x3964, v151, v145
	v_fma_f16 v150, v31, 0x39e9, -v150
	v_fmac_f16_e64 v145, 0xb964, v151
	v_mul_f16_e64 v136, 0xb1e1, v154
	v_fma_f16 v156, 0x31e1, v151, v137
	v_add_f16_e64 v133, v155, v133
	v_add_f16_e64 v140, v150, v140
	v_add_f16_e64 v142, v145, v142
	v_pk_add_f16 v150, v32, v33 neg_lo:[0,1] neg_hi:[0,1]
	v_add_f16_e64 v145, v156, v146
	v_mul_f16_e64 v146, 0x3b29, v154
	v_fma_f16 v155, 0xbbdd, v31, v136
	v_add_f16_e64 v149, v153, v149
	v_fma_f16 v136, v31, 0xbbdd, -v136
	v_fmac_f16_e64 v137, 0xb1e1, v151
	v_mul_f16_e64 v152, 0x3722, v152
	v_fma_f16 v153, 0x3722, v31, v146
	v_pk_add_f16 v32, v33, v32
	v_pk_mul_f16 v33, 0xb836, v150 op_sel_hi:[0,1]
	v_add_f16_e64 v136, v136, v138
	v_fma_f16 v138, 0xbb29, v151, v152
	v_add_f16_e64 v137, v137, v143
	v_add_f16_e64 v143, v153, v148
	v_pk_fma_f16 v148, 0xbacd, v32, v33 op_sel:[0,0,1] op_sel_hi:[0,1,0]
	v_pk_fma_f16 v33, 0xbacd, v32, v33 op_sel:[0,0,1] op_sel_hi:[0,1,0] neg_lo:[0,0,1] neg_hi:[0,0,1]
	v_add_f16_e64 v138, v138, v147
	v_lshrrev_b32_e32 v147, 16, v150
	v_fma_f16 v31, v31, 0x3722, -v146
	v_fmac_f16_e64 v152, 0x3b29, v151
	v_bfi_b32 v146, 0xffff, v148, v33
	v_lshrrev_b32_e32 v151, 16, v32
	v_mul_f16_e64 v153, 0x3b29, v147
	v_add_f16_e32 v31, v31, v35
	v_add_f16_e64 v35, v152, v41
	v_pk_add_f16 v41, v146, v42
	v_mul_f16_e64 v42, 0x3722, v151
	v_fma_f16 v146, 0x3722, v32, v153
	v_pk_add_f16 v33, v33, v34
	v_pk_add_f16 v34, v148, v37
	v_mul_f16_e64 v37, 0xbbf7, v147
	v_fma_f16 v148, 0xbb29, v150, v42
	v_add_f16_e64 v125, v146, v125
	v_fma_f16 v146, v32, 0x3722, -v153
	v_fmac_f16_e64 v42, 0x3b29, v150
	v_fma_f16 v152, 0x2de8, v32, v37
	v_add_f16_e64 v126, v148, v126
	v_mul_f16_e64 v148, 0x2de8, v151
	v_add_f16_e64 v39, v146, v39
	v_add_f16_e64 v42, v42, v128
	;; [unrolled: 1-line block ×3, first 2 shown]
	v_mul_f16_e64 v129, 0x3a62, v147
	v_fma_f16 v146, 0x3bf7, v150, v148
	v_fma_f16 v37, v32, 0x2de8, -v37
	v_fmac_f16_e64 v148, 0xbbf7, v150
	v_mul_f16_e64 v152, 0xb8d2, v151
	v_fma_f16 v153, 0xb8d2, v32, v129
	v_add_f16_e64 v131, v146, v131
	v_add_f16_e32 v37, v37, v38
	v_add_f16_e64 v38, v148, v40
	v_fma_f16 v40, 0xba62, v150, v152
	v_mul_f16_e64 v146, 0xb5c8, v147
	v_fma_f16 v129, v32, 0xb8d2, -v129
	v_fmac_f16_e64 v152, 0x3a62, v150
	v_add_f16_e64 v144, v155, v144
	v_add_f16_e32 v40, v40, v127
	v_mul_f16_e64 v127, 0x3b76, v151
	v_fma_f16 v148, 0x3b76, v32, v146
	v_add_f16_e64 v129, v129, v130
	v_add_f16_e64 v130, v152, v139
	v_mul_f16_e64 v139, 0xb1e1, v147
	v_fma_f16 v152, 0x35c8, v150, v127
	v_add_f16_e64 v134, v148, v134
	v_fmac_f16_e64 v127, 0xb5c8, v150
	v_fma_f16 v146, v32, 0x3b76, -v146
	v_fma_f16 v148, 0xbbdd, v32, v139
	v_add_f16_e64 v141, v152, v141
	v_mul_f16_e64 v152, 0xbbdd, v151
	v_add_f16_e32 v124, v127, v124
	v_add_f16_e64 v133, v153, v133
	v_add_f16_e64 v127, v148, v132
	v_mul_f16_e64 v132, 0x3964, v147
	v_add_f16_e64 v135, v146, v135
	v_fma_f16 v146, 0x31e1, v150, v152
	v_mul_f16_e64 v148, 0x39e9, v151
	v_fma_f16 v139, v32, 0xbbdd, -v139
	v_fmac_f16_e64 v152, 0xb1e1, v150
	v_fma_f16 v153, 0x39e9, v32, v132
	v_add_f16_e64 v146, v146, v149
	v_fma_f16 v149, 0xb964, v150, v148
	v_add_f16_e64 v139, v139, v140
	v_add_f16_e64 v140, v152, v142
	;; [unrolled: 1-line block ×3, first 2 shown]
	v_mul_f16_e64 v144, 0xbbb2, v147
	v_pk_add_f16 v147, v29, v30 neg_lo:[0,1] neg_hi:[0,1]
	v_add_f16_e64 v145, v149, v145
	v_fma_f16 v132, v32, 0x39e9, -v132
	v_fmac_f16_e64 v148, 0x3964, v150
	v_fma_f16 v149, 0xb461, v32, v144
	v_mul_f16_e64 v151, 0xb461, v151
	v_pk_add_f16 v29, v30, v29
	v_pk_mul_f16 v30, 0xb1e1, v147 op_sel_hi:[0,1]
	v_add_f16_e64 v132, v132, v136
	v_add_f16_e64 v136, v148, v137
	v_fma_f16 v137, 0x3bb2, v150, v151
	v_add_f16_e64 v143, v149, v143
	v_pk_fma_f16 v148, 0xbbdd, v29, v30 op_sel:[0,0,1] op_sel_hi:[0,1,0]
	v_pk_fma_f16 v30, 0xbbdd, v29, v30 op_sel:[0,0,1] op_sel_hi:[0,1,0] neg_lo:[0,0,1] neg_hi:[0,0,1]
	v_lshrrev_b32_e32 v149, 16, v147
	v_add_f16_e64 v137, v137, v138
	v_fma_f16 v32, v32, 0xb461, -v144
	v_fmac_f16_e64 v151, 0xbbb2, v150
	v_bfi_b32 v138, 0xffff, v148, v30
	v_mul_f16_e64 v144, 0x35c8, v149
	v_lshrrev_b32_e32 v150, 16, v29
	v_add_f16_e32 v31, v32, v31
	v_add_f16_e64 v32, v151, v35
	v_pk_add_f16 v35, v138, v41
	v_fma_f16 v41, 0x3b76, v29, v144
	v_mul_f16_e64 v138, 0x3b76, v150
	v_pk_add_f16 v30, v30, v33
	v_pk_add_f16 v33, v148, v34
	v_mul_f16_e64 v34, 0xb836, v149
	v_add_f16_e32 v41, v41, v125
	v_fma_f16 v125, 0xb5c8, v147, v138
	v_fma_f16 v144, v29, 0x3b76, -v144
	v_fmac_f16_e64 v138, 0x35c8, v147
	v_fma_f16 v148, 0xbacd, v29, v34
	v_mul_f16_e64 v151, 0xbacd, v150
	v_add_f16_e32 v125, v125, v126
	v_add_f16_e64 v39, v144, v39
	v_add_f16_e64 v42, v138, v42
	v_add_f16_e64 v126, v148, v128
	v_fma_f16 v128, 0x3836, v147, v151
	v_mul_f16_e64 v138, 0x3964, v149
	v_fma_f16 v34, v29, 0xbacd, -v34
	v_fmac_f16_e64 v151, 0xb836, v147
	v_mul_f16_e64 v144, 0x39e9, v150
	v_add_f16_e64 v128, v128, v131
	v_fma_f16 v131, 0x39e9, v29, v138
	v_add_f16_e32 v34, v34, v37
	v_add_f16_e64 v37, v151, v38
	v_fma_f16 v38, 0xb964, v147, v144
	v_mul_f16_e64 v148, 0xba62, v149
	v_add_f16_e64 v131, v131, v133
	v_fma_f16 v133, v29, 0x39e9, -v138
	v_mul_f16_e64 v138, 0xb8d2, v150
	v_add_f16_e32 v38, v38, v40
	v_fma_f16 v40, 0xb8d2, v29, v148
	v_fmac_f16_e64 v144, 0x3964, v147
	v_mul_f16_e64 v151, 0x3722, v150
	v_add_f16_e64 v129, v133, v129
	v_mul_f16_e64 v133, 0x3b29, v149
	v_add_f16_e64 v40, v40, v134
	v_fma_f16 v134, 0x3a62, v147, v138
	v_fmac_f16_e64 v138, 0xba62, v147
	v_add_f16_e64 v130, v144, v130
	v_fma_f16 v144, v29, 0xb8d2, -v148
	v_fma_f16 v148, 0x3722, v29, v133
	v_add_f16_e64 v134, v134, v141
	v_add_f16_e64 v124, v138, v124
	v_fma_f16 v138, 0xbb29, v147, v151
	v_mul_f16_e64 v141, 0xbbb2, v149
	v_add_f16_e64 v135, v144, v135
	v_fma_f16 v133, v29, 0x3722, -v133
	v_fmac_f16_e64 v151, 0x3b29, v147
	v_mul_f16_e64 v144, 0xb461, v150
	v_add_f16_e64 v138, v138, v146
	v_fma_f16 v146, 0xb461, v29, v141
	v_add_f16_e64 v127, v148, v127
	v_add_f16_e64 v133, v133, v139
	;; [unrolled: 1-line block ×3, first 2 shown]
	v_fma_f16 v140, 0x3bb2, v147, v144
	v_fma_f16 v141, v29, 0xb461, -v141
	v_add_f16_e64 v142, v146, v142
	v_mul_f16_e64 v146, 0x3bf7, v149
	v_mul_f16_e64 v148, 0x2de8, v150
	v_add_f16_e64 v140, v140, v145
	v_add_f16_e64 v132, v141, v132
	v_fmac_f16_e64 v144, 0xbbb2, v147
	v_fma_f16 v141, 0x2de8, v29, v146
	v_fma_f16 v145, 0xbbf7, v147, v148
	v_fma_f16 v29, v29, 0x2de8, -v146
	v_fmac_f16_e64 v148, 0x3bf7, v147
	v_add_f16_e64 v136, v144, v136
	v_add_f16_e64 v141, v141, v143
	;; [unrolled: 1-line block ×3, first 2 shown]
	v_add_f16_e32 v29, v29, v31
	v_add_f16_e64 v31, v148, v32
	v_pack_b32_f16 v32, v126, v128
	v_pack_b32_f16 v41, v41, v125
	;; [unrolled: 1-line block ×8, first 2 shown]
	ds_store_2addr_b32 v80, v36, v35 offset1:1
	ds_store_2addr_b32 v80, v41, v32 offset0:2 offset1:3
	ds_store_2addr_b32 v80, v38, v40 offset0:4 offset1:5
	;; [unrolled: 1-line block ×3, first 2 shown]
	v_pack_b32_f16 v32, v133, v139
	v_pack_b32_f16 v35, v132, v136
	;; [unrolled: 1-line block ×6, first 2 shown]
	v_bfi_b32 v30, 0xffff, v30, v33
	ds_store_2addr_b32 v80, v31, v29 offset0:8 offset1:9
	ds_store_2addr_b32 v80, v35, v32 offset0:10 offset1:11
	;; [unrolled: 1-line block ×4, first 2 shown]
	ds_store_b32 v80, v30 offset:64
	global_wb scope:SCOPE_SE
	s_wait_dscnt 0x0
	s_barrier_signal -1
	s_barrier_wait -1
	global_inv scope:SCOPE_SE
	ds_load_2addr_b32 v[37:38], v43 offset1:102
	ds_load_2addr_b32 v[29:30], v122 offset0:76 offset1:178
	ds_load_2addr_b32 v[33:34], v117 offset0:152 offset1:254
	;; [unrolled: 1-line block ×7, first 2 shown]
	ds_load_b32 v80, v43 offset:6528
	global_wb scope:SCOPE_SE
	s_wait_dscnt 0x0
	s_barrier_signal -1
	s_barrier_wait -1
	global_inv scope:SCOPE_SE
	v_lshrrev_b32_e32 v31, 16, v38
	v_lshrrev_b32_e32 v32, 16, v29
	;; [unrolled: 1-line block ×3, first 2 shown]
	v_mul_f16_e32 v35, v96, v38
	v_lshrrev_b32_e32 v127, 16, v33
	v_mul_f16_e64 v137, v96, v31
	v_lshrrev_b32_e32 v128, 16, v34
	v_lshrrev_b32_e32 v129, 16, v39
	v_fma_f16 v140, v12, v31, -v35
	v_mul_f16_e64 v141, v93, v36
	v_fmac_f16_e64 v137, v12, v38
	v_mul_f16_e32 v38, v95, v32
	v_mul_f16_e32 v95, v95, v29
	;; [unrolled: 1-line block ×3, first 2 shown]
	v_lshrrev_b32_e32 v126, 16, v37
	v_lshrrev_b32_e32 v130, 16, v40
	v_fmac_f16_e32 v38, v13, v29
	v_fma_f16 v93, v13, v32, -v95
	v_mul_f16_e32 v35, v90, v127
	v_fmac_f16_e64 v141, v14, v30
	v_fma_f16 v95, v14, v36, -v12
	v_mul_f16_e32 v12, v90, v33
	v_mul_f16_e64 v32, v91, v128
	v_mul_f16_e32 v13, v91, v34
	v_mul_f16_e64 v29, v89, v129
	v_mul_f16_e32 v14, v89, v39
	v_fmac_f16_e32 v35, v15, v33
	v_fma_f16 v36, v15, v127, -v12
	v_fmac_f16_e32 v32, v8, v34
	v_fma_f16 v33, v8, v128, -v13
	v_fmac_f16_e32 v29, v9, v39
	v_mul_f16_e64 v12, v87, v130
	v_mul_f16_e32 v8, v87, v40
	v_fma_f16 v30, v9, v129, -v14
	v_add_f16_e64 v9, v37, v137
	v_add_f16_e64 v14, v126, v140
	v_fmac_f16_e32 v12, v10, v40
	v_fma_f16 v13, v10, v130, -v8
	v_lshrrev_b32_e32 v131, 16, v41
	v_add_f16_e32 v10, v9, v38
	v_add_f16_e32 v14, v14, v93
	v_mul_f16_e32 v15, v82, v41
	v_lshrrev_b32_e32 v132, 16, v42
	v_lshrrev_b32_e32 v133, 16, v122
	v_add_f16_e64 v31, v10, v141
	v_add_f16_e32 v14, v14, v95
	v_mul_f16_e64 v8, v82, v131
	v_fma_f16 v10, v11, v131, -v15
	v_mul_f16_e64 v9, v81, v132
	v_add_f16_e32 v15, v31, v35
	v_add_f16_e32 v31, v14, v36
	v_fmac_f16_e32 v8, v11, v41
	v_mul_f16_e32 v11, v81, v42
	v_mul_f16_e64 v14, v83, v133
	v_mul_f16_e32 v34, v83, v122
	v_add_f16_e32 v39, v31, v33
	v_fmac_f16_e32 v9, v0, v42
	v_fma_f16 v11, v0, v132, -v11
	v_add_f16_e32 v0, v15, v32
	v_fmac_f16_e32 v14, v1, v122
	v_fma_f16 v15, v1, v133, -v34
	v_add_f16_e32 v1, v39, v30
	v_lshrrev_b32_e32 v134, 16, v123
	v_add_f16_e32 v0, v0, v29
	v_lshrrev_b32_e32 v135, 16, v124
	v_mul_f16_e32 v39, v85, v123
	v_add_f16_e32 v1, v1, v13
	v_mul_f16_e64 v31, v85, v134
	v_add_f16_e32 v0, v0, v12
	v_lshrrev_b32_e32 v136, 16, v125
	v_mul_f16_e64 v34, v86, v135
	v_add_f16_e32 v1, v1, v10
	v_fmac_f16_e32 v31, v2, v123
	v_add_f16_e32 v0, v0, v8
	v_fma_f16 v2, v2, v134, -v39
	v_mul_f16_e32 v39, v86, v124
	v_add_f16_e32 v1, v1, v11
	v_lshrrev_b32_e32 v138, 16, v120
	v_add_f16_e32 v0, v0, v9
	v_fmac_f16_e32 v34, v3, v124
	v_mul_f16_e64 v40, v84, v136
	v_add_f16_e32 v1, v1, v15
	v_mul_f16_e32 v41, v84, v125
	v_fma_f16 v3, v3, v135, -v39
	v_add_f16_e32 v0, v0, v14
	v_lshrrev_b32_e32 v139, 16, v121
	v_add_f16_e32 v1, v1, v2
	v_fmac_f16_e32 v40, v4, v125
	v_fma_f16 v4, v4, v136, -v41
	v_mul_f16_e64 v39, v94, v138
	v_mul_f16_e32 v41, v94, v120
	v_add_f16_e32 v0, v0, v31
	v_add_f16_e32 v1, v1, v3
	v_lshrrev_b32_e32 v96, 16, v80
	v_mul_f16_e64 v42, v88, v139
	v_fmac_f16_e32 v39, v5, v120
	v_fma_f16 v5, v5, v138, -v41
	v_mul_f16_e32 v41, v92, v80
	v_add_f16_e32 v0, v0, v34
	v_mul_f16_e32 v82, v88, v121
	v_add_f16_e32 v1, v1, v4
	v_fmac_f16_e32 v42, v6, v121
	v_mul_f16_e32 v81, v92, v96
	v_fma_f16 v41, v7, v96, -v41
	v_add_f16_e32 v0, v0, v40
	v_fma_f16 v6, v6, v139, -v82
	v_add_f16_e32 v1, v1, v5
	v_fmac_f16_e32 v81, v7, v80
	v_sub_f16_e64 v7, v140, v41
	v_add_f16_e32 v0, v0, v39
	v_add_f16_e64 v82, v140, v41
	v_add_f16_e32 v1, v1, v6
	v_add_f16_e64 v80, v137, v81
	v_mul_f16_e32 v83, 0xb5c8, v7
	v_add_f16_e32 v0, v0, v42
	v_sub_f16_e64 v84, v137, v81
	v_mul_f16_e32 v85, 0x3b76, v82
	v_add_f16_e32 v1, v1, v41
	v_mul_f16_e32 v41, 0xb964, v7
	v_mul_f16_e32 v88, 0x39e9, v82
	v_mul_f16_e32 v89, 0xbb29, v7
	v_mul_f16_e32 v91, 0x3722, v82
	v_mul_f16_e32 v96, 0xbbf7, v7
	v_mul_f16_e32 v120, 0x2de8, v82
	v_mul_f16_e32 v122, 0xbbb2, v7
	v_mul_f16_e32 v125, 0xb461, v82
	v_mul_f16_e32 v127, 0xba62, v7
	v_mul_f16_e64 v129, 0xb8d2, v82
	v_mul_f16_e64 v132, 0xb836, v7
	;; [unrolled: 1-line block ×3, first 2 shown]
	v_mul_f16_e32 v7, 0xb1e1, v7
	v_mul_f16_e32 v82, 0xbbdd, v82
	v_sub_f16_e64 v137, v93, v6
	v_add_f16_e32 v6, v93, v6
	v_fmamk_f16 v86, v80, 0x3b76, v83
	v_add_f16_e32 v0, v0, v81
	v_fmamk_f16 v81, v84, 0x35c8, v85
	v_fma_f16 v83, v80, 0x3b76, -v83
	v_fmac_f16_e32 v85, 0xb5c8, v84
	v_fmamk_f16 v87, v80, 0x39e9, v41
	v_fmamk_f16 v90, v84, 0x3964, v88
	v_fma_f16 v41, v80, 0x39e9, -v41
	v_fmac_f16_e32 v88, 0xb964, v84
	v_fmamk_f16 v92, v80, 0x3722, v89
	;; [unrolled: 4-line block ×4, first 2 shown]
	v_fma_f16 v128, 0x3bb2, v84, v125
	v_fma_f16 v122, v80, 0xb461, -v122
	v_fmac_f16_e32 v125, 0xbbb2, v84
	v_fma_f16 v130, 0xb8d2, v80, v127
	v_fma_f16 v131, 0x3a62, v84, v129
	v_fma_f16 v127, v80, 0xb8d2, -v127
	v_fmac_f16_e64 v129, 0xba62, v84
	v_fma_f16 v134, 0xbacd, v80, v132
	v_fma_f16 v135, 0x3836, v84, v133
	v_fma_f16 v132, v80, 0xbacd, -v132
	v_fmac_f16_e64 v133, 0xb836, v84
	v_fma_f16 v136, 0xbbdd, v80, v7
	v_fma_f16 v138, 0x31e1, v84, v82
	v_fma_f16 v7, v80, 0xbbdd, -v7
	v_add_f16_e32 v80, v38, v42
	v_mul_f16_e64 v93, 0xb964, v137
	v_fmac_f16_e32 v82, 0xb1e1, v84
	v_sub_f16_e32 v38, v38, v42
	v_mul_f16_e32 v42, 0x39e9, v6
	v_add_f16_e32 v86, v37, v86
	v_add_f16_e32 v81, v126, v81
	;; [unrolled: 1-line block ×17, first 2 shown]
	v_add_f16_e64 v128, v126, v128
	v_add_f16_e32 v122, v37, v122
	v_add_f16_e32 v125, v126, v125
	v_add_f16_e64 v130, v37, v130
	v_add_f16_e64 v131, v126, v131
	v_add_f16_e32 v127, v37, v127
	v_add_f16_e64 v129, v126, v129
	v_add_f16_e64 v134, v37, v134
	;; [unrolled: 1-line block ×7, first 2 shown]
	v_fma_f16 v138, 0x39e9, v80, v93
	v_add_f16_e32 v7, v37, v7
	v_add_f16_e32 v37, v126, v82
	v_fmamk_f16 v82, v38, 0x3964, v42
	v_mul_f16_e64 v126, 0xbbf7, v137
	v_fmac_f16_e32 v42, 0xb964, v38
	v_add_f16_e64 v86, v138, v86
	v_fma_f16 v93, v80, 0x39e9, -v93
	v_add_f16_e32 v81, v82, v81
	v_fmamk_f16 v82, v80, 0x2de8, v126
	v_mul_f16_e64 v138, 0x2de8, v6
	v_add_f16_e32 v42, v42, v85
	v_mul_f16_e64 v85, 0xba62, v137
	v_add_f16_e32 v83, v93, v83
	v_add_f16_e32 v82, v82, v87
	v_fma_f16 v87, 0x3bf7, v38, v138
	v_fma_f16 v93, v80, 0x2de8, -v126
	v_fmamk_f16 v126, v80, 0xb8d2, v85
	v_mul_f16_e64 v139, 0xb8d2, v6
	v_fmac_f16_e64 v138, 0xbbf7, v38
	v_add_f16_e32 v87, v87, v90
	v_add_f16_e32 v41, v93, v41
	v_add_f16_e32 v90, v126, v92
	v_fma_f16 v92, 0x3a62, v38, v139
	v_mul_f16_e64 v93, 0xb1e1, v137
	v_fma_f16 v85, v80, 0xb8d2, -v85
	v_fmac_f16_e64 v139, 0xba62, v38
	v_mul_f16_e32 v126, 0xbbdd, v6
	v_add_f16_e64 v88, v138, v88
	v_add_f16_e32 v92, v92, v94
	v_fmamk_f16 v94, v80, 0xbbdd, v93
	v_add_f16_e32 v85, v85, v89
	v_add_f16_e64 v89, v139, v91
	v_fmamk_f16 v91, v38, 0x31e1, v126
	v_mul_f16_e64 v138, 0x3836, v137
	v_add_f16_e32 v94, v94, v121
	v_fma_f16 v93, v80, 0xbbdd, -v93
	v_fmac_f16_e32 v126, 0xb1e1, v38
	v_add_f16_e32 v91, v91, v123
	v_fma_f16 v121, 0xbacd, v80, v138
	v_mul_f16_e32 v123, 0xbacd, v6
	v_add_f16_e32 v93, v93, v96
	v_add_f16_e32 v96, v126, v120
	v_mul_f16_e64 v120, 0x3bb2, v137
	v_add_f16_e32 v121, v121, v124
	v_fmamk_f16 v124, v38, 0xb836, v123
	v_fma_f16 v126, v80, 0xbacd, -v138
	v_mul_f16_e64 v139, 0xb461, v6
	v_fmac_f16_e32 v123, 0x3836, v38
	v_fma_f16 v138, 0xb461, v80, v120
	v_add_f16_e64 v124, v124, v128
	v_add_f16_e32 v122, v126, v122
	v_fma_f16 v126, 0xbbb2, v38, v139
	v_mul_f16_e64 v128, 0x3b29, v137
	v_add_f16_e32 v123, v123, v125
	v_add_f16_e64 v125, v138, v130
	v_fma_f16 v120, v80, 0xb461, -v120
	v_mul_f16_e64 v130, 0x3722, v6
	v_add_f16_e64 v126, v126, v131
	v_fma_f16 v131, 0x3722, v80, v128
	v_mul_f16_e64 v137, 0x35c8, v137
	v_fma_f16 v128, v80, 0x3722, -v128
	v_add_f16_e32 v120, v120, v127
	v_fma_f16 v127, 0xbb29, v38, v130
	v_add_f16_e64 v131, v131, v134
	v_fmac_f16_e64 v130, 0x3b29, v38
	v_fma_f16 v134, 0x3b76, v80, v137
	v_add_f16_e64 v128, v128, v132
	v_sub_f16_e64 v132, v95, v5
	v_add_f16_e64 v127, v127, v135
	v_mul_f16_e32 v6, 0x3b76, v6
	v_add_f16_e64 v130, v130, v133
	v_add_f16_e64 v133, v134, v136
	;; [unrolled: 1-line block ×3, first 2 shown]
	v_mul_f16_e64 v136, 0xbb29, v132
	v_add_f16_e32 v5, v95, v5
	v_fmac_f16_e64 v139, 0x3bb2, v38
	v_fma_f16 v134, 0xb5c8, v38, v6
	v_fma_f16 v80, v80, 0x3b76, -v137
	v_fmac_f16_e32 v6, 0x35c8, v38
	v_sub_f16_e64 v38, v141, v39
	v_fma_f16 v39, 0x3722, v135, v136
	v_mul_f16_e32 v95, 0x3722, v5
	v_add_f16_e64 v84, v134, v84
	v_add_f16_e32 v7, v80, v7
	v_add_f16_e32 v6, v6, v37
	;; [unrolled: 1-line block ×3, first 2 shown]
	v_fmamk_f16 v39, v38, 0x3b29, v95
	v_mul_f16_e64 v80, 0xba62, v132
	v_fma_f16 v86, v135, 0x3722, -v136
	v_fmac_f16_e32 v95, 0xbb29, v38
	v_mul_f16_e64 v134, 0xb8d2, v5
	v_add_f16_e32 v39, v39, v81
	v_fma_f16 v81, 0xb8d2, v135, v80
	v_add_f16_e32 v83, v86, v83
	v_add_f16_e32 v42, v95, v42
	v_fma_f16 v86, 0x3a62, v38, v134
	v_mul_f16_e64 v95, 0x31e1, v132
	v_add_f16_e32 v81, v81, v82
	v_fma_f16 v80, v135, 0xb8d2, -v80
	v_fmac_f16_e64 v134, 0xba62, v38
	v_add_f16_e32 v82, v86, v87
	v_fma_f16 v86, 0xbbdd, v135, v95
	v_mul_f16_e32 v87, 0xbbdd, v5
	v_add_f16_e32 v41, v80, v41
	v_add_f16_e64 v80, v134, v88
	v_mul_f16_e64 v88, 0x3bb2, v132
	v_add_f16_e32 v86, v86, v90
	v_fmamk_f16 v90, v38, 0xb1e1, v87
	v_fma_f16 v95, v135, 0xbbdd, -v95
	v_mul_f16_e64 v136, 0xb461, v5
	v_fmac_f16_e32 v87, 0x31e1, v38
	v_fma_f16 v134, 0xb461, v135, v88
	v_add_f16_e32 v90, v90, v92
	v_add_f16_e32 v85, v95, v85
	v_fma_f16 v92, 0xbbb2, v38, v136
	v_fma_f16 v88, v135, 0xb461, -v88
	v_fmac_f16_e64 v136, 0x3bb2, v38
	v_mul_f16_e32 v95, 0x39e9, v5
	v_add_f16_e32 v87, v87, v89
	v_add_f16_e64 v89, v134, v94
	v_mul_f16_e64 v94, 0x3964, v132
	v_add_f16_e32 v88, v88, v93
	v_add_f16_e64 v93, v136, v96
	v_fmamk_f16 v96, v38, 0xb964, v95
	v_add_f16_e32 v91, v92, v91
	v_fma_f16 v92, 0x39e9, v135, v94
	v_mul_f16_e64 v134, 0xb5c8, v132
	v_fma_f16 v94, v135, 0x39e9, -v94
	v_fmac_f16_e32 v95, 0x3964, v38
	v_add_f16_e32 v96, v96, v124
	v_mul_f16_e32 v124, 0x3b76, v5
	v_add_f16_e32 v92, v92, v121
	v_fma_f16 v121, 0x3b76, v135, v134
	v_add_f16_e32 v94, v94, v122
	v_add_f16_e32 v95, v95, v123
	v_mul_f16_e64 v122, 0xbbf7, v132
	v_fmamk_f16 v123, v38, 0x35c8, v124
	v_mul_f16_e64 v136, 0x2de8, v5
	v_add_f16_e64 v129, v139, v129
	v_add_f16_e32 v121, v121, v125
	v_fma_f16 v125, v135, 0x3b76, -v134
	v_fmac_f16_e32 v124, 0xb5c8, v38
	v_fma_f16 v134, 0x2de8, v135, v122
	v_add_f16_e32 v123, v123, v126
	v_fma_f16 v126, 0x3bf7, v38, v136
	v_mul_f16_e32 v5, 0xbacd, v5
	v_fma_f16 v122, v135, 0x2de8, -v122
	v_fmac_f16_e64 v136, 0xbbf7, v38
	v_add_f16_e32 v120, v125, v120
	v_add_f16_e64 v124, v124, v129
	v_add_f16_e64 v125, v134, v131
	v_mul_f16_e64 v129, 0xb836, v132
	v_fma_f16 v131, 0x3836, v38, v5
	v_add_f16_e64 v122, v122, v128
	v_add_f16_e64 v128, v136, v130
	v_sub_f16_e64 v130, v36, v4
	v_add_f16_e32 v4, v36, v4
	v_add_f16_e32 v126, v126, v127
	v_fma_f16 v127, 0xbacd, v135, v129
	v_add_f16_e64 v84, v131, v84
	v_add_f16_e64 v131, v35, v40
	v_mul_f16_e64 v36, 0xbbf7, v130
	v_fma_f16 v129, v135, 0xbacd, -v129
	v_fmac_f16_e32 v5, 0xb836, v38
	v_sub_f16_e32 v35, v35, v40
	v_mul_f16_e32 v38, 0x2de8, v4
	v_fma_f16 v40, 0x2de8, v131, v36
	v_add_f16_e64 v7, v129, v7
	v_add_f16_e32 v5, v5, v6
	v_mul_f16_e64 v6, 0xb1e1, v130
	v_fma_f16 v129, 0x3bf7, v35, v38
	v_add_f16_e32 v37, v40, v37
	v_fma_f16 v36, v131, 0x2de8, -v36
	v_fmac_f16_e32 v38, 0xbbf7, v35
	v_fma_f16 v40, 0xbbdd, v131, v6
	v_add_f16_e64 v39, v129, v39
	v_mul_f16_e64 v129, 0xbbdd, v4
	v_add_f16_e32 v36, v36, v83
	v_add_f16_e32 v38, v38, v42
	v_add_f16_e32 v40, v40, v81
	v_mul_f16_e64 v42, 0x3bb2, v130
	v_fma_f16 v81, 0x31e1, v35, v129
	v_fma_f16 v6, v131, 0xbbdd, -v6
	v_fmac_f16_e64 v129, 0xb1e1, v35
	v_mul_f16_e32 v83, 0xb461, v4
	v_fma_f16 v132, 0xb461, v131, v42
	v_add_f16_e32 v81, v81, v82
	v_add_f16_e32 v6, v6, v41
	v_add_f16_e64 v41, v129, v80
	v_fmamk_f16 v80, v35, 0xbbb2, v83
	v_add_f16_e64 v82, v132, v86
	v_mul_f16_e64 v86, 0x35c8, v130
	v_fma_f16 v42, v131, 0xb461, -v42
	v_fmac_f16_e32 v83, 0x3bb2, v35
	v_add_f16_e32 v80, v80, v90
	v_mul_f16_e32 v90, 0x3b76, v4
	v_fma_f16 v129, 0x3b76, v131, v86
	v_add_f16_e32 v42, v42, v85
	v_add_f16_e32 v83, v83, v87
	v_mul_f16_e64 v85, 0xbb29, v130
	v_fmamk_f16 v87, v35, 0xb5c8, v90
	v_add_f16_e64 v89, v129, v89
	v_fma_f16 v86, v131, 0x3b76, -v86
	v_fmac_f16_e32 v90, 0x35c8, v35
	v_fma_f16 v129, 0x3722, v131, v85
	v_add_f16_e32 v87, v87, v91
	v_mul_f16_e32 v91, 0x3722, v4
	v_add_f16_e32 v86, v86, v88
	v_add_f16_e32 v88, v90, v93
	v_add_f16_e64 v90, v129, v92
	v_mul_f16_e64 v92, 0xb836, v130
	v_fmamk_f16 v93, v35, 0x3b29, v91
	v_fma_f16 v85, v131, 0x3722, -v85
	v_mul_f16_e64 v129, 0xbacd, v4
	v_fmac_f16_e32 v91, 0xbb29, v35
	v_fma_f16 v132, 0xbacd, v131, v92
	v_add_f16_e32 v93, v93, v96
	v_add_f16_e32 v85, v85, v94
	v_fma_f16 v94, 0x3836, v35, v129
	v_mul_f16_e64 v96, 0x3a62, v130
	v_fma_f16 v92, v131, 0xbacd, -v92
	v_fmac_f16_e64 v129, 0xb836, v35
	v_add_f16_e64 v127, v127, v133
	v_add_f16_e32 v94, v94, v123
	v_fma_f16 v123, 0xb8d2, v131, v96
	v_add_f16_e32 v92, v92, v120
	v_add_f16_e64 v120, v129, v124
	v_mul_f16_e64 v124, 0x3964, v130
	v_add_f16_e32 v91, v91, v95
	v_add_f16_e64 v95, v132, v121
	v_mul_f16_e32 v121, 0xb8d2, v4
	v_add_f16_e32 v123, v123, v125
	v_fma_f16 v96, v131, 0xb8d2, -v96
	v_fma_f16 v125, 0x39e9, v131, v124
	v_mul_f16_e32 v4, 0x39e9, v4
	v_fma_f16 v129, 0xba62, v35, v121
	v_fmac_f16_e32 v121, 0x3a62, v35
	v_add_f16_e32 v96, v96, v122
	v_add_f16_e32 v122, v125, v127
	v_sub_f16_e32 v125, v33, v3
	v_add_f16_e32 v3, v33, v3
	v_add_f16_e64 v121, v121, v128
	v_fmamk_f16 v127, v35, 0xb964, v4
	v_fma_f16 v124, v131, 0x39e9, -v124
	v_add_f16_e32 v33, v32, v34
	v_mul_f16_e64 v128, 0xbbb2, v125
	v_fmac_f16_e32 v4, 0x3964, v35
	v_sub_f16_e32 v32, v32, v34
	v_mul_f16_e32 v34, 0xb461, v3
	v_add_f16_e32 v35, v127, v84
	v_fma_f16 v84, 0xb461, v33, v128
	v_add_f16_e32 v7, v124, v7
	v_add_f16_e32 v4, v4, v5
	v_fmamk_f16 v5, v32, 0x3bb2, v34
	v_mul_f16_e32 v124, 0x3836, v125
	v_fmac_f16_e32 v34, 0xbbb2, v32
	v_add_f16_e32 v37, v84, v37
	v_fma_f16 v84, v33, 0xb461, -v128
	v_add_f16_e32 v5, v5, v39
	v_fmamk_f16 v39, v33, 0xbacd, v124
	v_mul_f16_e32 v127, 0xbacd, v3
	v_add_f16_e32 v34, v34, v38
	v_mul_f16_e32 v38, 0x3964, v125
	v_add_f16_e32 v36, v84, v36
	v_add_f16_e32 v39, v39, v40
	v_fmamk_f16 v40, v32, 0xb836, v127
	v_fma_f16 v84, v33, 0xbacd, -v124
	v_fmamk_f16 v124, v33, 0x39e9, v38
	v_mul_f16_e64 v128, 0x39e9, v3
	v_fmac_f16_e32 v127, 0x3836, v32
	v_add_f16_e32 v40, v40, v81
	v_add_f16_e32 v6, v84, v6
	;; [unrolled: 1-line block ×3, first 2 shown]
	v_fma_f16 v82, 0xb964, v32, v128
	v_mul_f16_e32 v84, 0xbb29, v125
	v_fma_f16 v38, v33, 0x39e9, -v38
	v_fmac_f16_e64 v128, 0x3964, v32
	v_mul_f16_e32 v124, 0x3722, v3
	v_add_f16_e32 v41, v127, v41
	v_add_f16_e32 v80, v82, v80
	v_fmamk_f16 v82, v33, 0x3722, v84
	v_add_f16_e32 v38, v38, v42
	v_add_f16_e64 v42, v128, v83
	v_fmamk_f16 v83, v32, 0x3b29, v124
	v_mul_f16_e32 v127, 0xb1e1, v125
	v_fma_f16 v84, v33, 0x3722, -v84
	v_fmac_f16_e32 v124, 0xbb29, v32
	v_add_f16_e32 v82, v82, v89
	v_add_f16_e32 v83, v83, v87
	v_fmamk_f16 v87, v33, 0xbbdd, v127
	v_mul_f16_e32 v89, 0xbbdd, v3
	v_add_f16_e32 v84, v84, v86
	v_add_f16_e32 v86, v124, v88
	v_mul_f16_e32 v88, 0x3bf7, v125
	v_add_f16_e32 v87, v87, v90
	v_fmamk_f16 v90, v32, 0x31e1, v89
	v_fma_f16 v124, v33, 0xbbdd, -v127
	v_fmac_f16_e32 v89, 0xb1e1, v32
	v_fmamk_f16 v127, v33, 0x2de8, v88
	v_mul_f16_e64 v128, 0x2de8, v3
	v_add_f16_e32 v90, v90, v93
	v_add_f16_e32 v85, v124, v85
	;; [unrolled: 1-line block ×4, first 2 shown]
	v_fma_f16 v93, 0xbbf7, v32, v128
	v_mul_f16_e32 v95, 0xb5c8, v125
	v_fma_f16 v88, v33, 0x2de8, -v88
	v_mul_f16_e32 v124, 0x3b76, v3
	v_add_f16_e64 v126, v129, v126
	v_add_f16_e32 v93, v93, v94
	v_fmamk_f16 v94, v33, 0x3b76, v95
	v_fma_f16 v95, v33, 0x3b76, -v95
	v_add_f16_e32 v88, v88, v92
	v_fmamk_f16 v92, v32, 0x35c8, v124
	v_mul_f16_e32 v125, 0xba62, v125
	v_fmac_f16_e32 v124, 0xb5c8, v32
	v_add_f16_e32 v95, v95, v96
	v_sub_f16_e32 v96, v30, v2
	v_add_f16_e32 v94, v94, v123
	v_add_f16_e32 v92, v92, v126
	v_fmamk_f16 v123, v33, 0xb8d2, v125
	v_mul_f16_e32 v3, 0xb8d2, v3
	v_add_f16_e32 v121, v124, v121
	v_add_f16_e32 v124, v29, v31
	v_mul_f16_e32 v126, 0xba62, v96
	v_add_f16_e32 v2, v30, v2
	v_fmac_f16_e64 v128, 0x3bf7, v32
	v_add_f16_e32 v122, v123, v122
	v_fmamk_f16 v123, v32, 0x3a62, v3
	v_fma_f16 v30, v33, 0xb8d2, -v125
	v_fmac_f16_e32 v3, 0xba62, v32
	v_sub_f16_e32 v29, v29, v31
	v_fmamk_f16 v31, v124, 0xb8d2, v126
	v_mul_f16_e32 v32, 0xb8d2, v2
	v_add_f16_e32 v33, v123, v35
	v_add_f16_e32 v7, v30, v7
	;; [unrolled: 1-line block ×4, first 2 shown]
	v_fmamk_f16 v30, v29, 0x3a62, v32
	v_mul_f16_e32 v31, 0x3bb2, v96
	v_fma_f16 v35, v124, 0xb8d2, -v126
	v_fmac_f16_e32 v32, 0xba62, v29
	v_mul_f16_e32 v37, 0xb461, v2
	v_add_f16_e32 v5, v30, v5
	v_fmamk_f16 v30, v124, 0xb461, v31
	v_add_f16_e32 v35, v35, v36
	v_add_f16_e32 v32, v32, v34
	v_fmamk_f16 v34, v29, 0xbbb2, v37
	v_mul_f16_e32 v36, 0xb5c8, v96
	v_fma_f16 v31, v124, 0xb461, -v31
	v_fmac_f16_e32 v37, 0x3bb2, v29
	v_add_f16_e32 v30, v30, v39
	v_add_f16_e32 v34, v34, v40
	v_fmamk_f16 v39, v124, 0x3b76, v36
	v_mul_f16_e32 v40, 0x3b76, v2
	v_add_f16_e32 v6, v31, v6
	v_add_f16_e32 v31, v37, v41
	v_mul_f16_e32 v37, 0xb836, v96
	v_add_f16_e32 v39, v39, v81
	v_fmamk_f16 v41, v29, 0x35c8, v40
	v_fma_f16 v36, v124, 0x3b76, -v36
	v_fmac_f16_e32 v40, 0xb5c8, v29
	v_fmamk_f16 v81, v124, 0xbacd, v37
	v_mul_f16_e32 v123, 0xbacd, v2
	v_add_f16_e32 v41, v41, v80
	v_add_f16_e32 v36, v36, v38
	;; [unrolled: 1-line block ×4, first 2 shown]
	v_fmamk_f16 v42, v29, 0x3836, v123
	v_mul_f16_e32 v80, 0x3bf7, v96
	v_fma_f16 v37, v124, 0xbacd, -v37
	v_fmac_f16_e32 v123, 0xb836, v29
	v_mul_f16_e32 v81, 0x2de8, v2
	v_add_f16_e32 v42, v42, v83
	v_fmamk_f16 v82, v124, 0x2de8, v80
	v_add_f16_e32 v37, v37, v84
	v_add_f16_e32 v83, v123, v86
	v_fmamk_f16 v84, v29, 0xbbf7, v81
	v_mul_f16_e32 v86, 0xb964, v96
	v_fma_f16 v80, v124, 0x2de8, -v80
	v_add_f16_e32 v82, v82, v87
	v_fmac_f16_e32 v81, 0x3bf7, v29
	v_add_f16_e32 v84, v84, v90
	v_fmamk_f16 v87, v124, 0x39e9, v86
	v_mul_f16_e32 v90, 0x39e9, v2
	v_add_f16_e32 v80, v80, v85
	v_mul_f16_e32 v85, 0xb1e1, v96
	v_add_f16_e64 v120, v128, v120
	v_add_f16_e32 v81, v81, v89
	v_add_f16_e32 v87, v87, v91
	v_fmamk_f16 v89, v29, 0x3964, v90
	v_fma_f16 v86, v124, 0x39e9, -v86
	v_fmac_f16_e32 v90, 0xb964, v29
	v_fmamk_f16 v91, v124, 0xbbdd, v85
	v_mul_f16_e32 v123, 0xbbdd, v2
	v_mul_f16_e32 v2, 0x3722, v2
	v_add_f16_e32 v89, v89, v93
	v_add_f16_e32 v86, v86, v88
	;; [unrolled: 1-line block ×4, first 2 shown]
	v_fmamk_f16 v91, v29, 0x31e1, v123
	v_mul_f16_e32 v93, 0x3b29, v96
	v_fmamk_f16 v94, v29, 0xbb29, v2
	v_sub_f16_e32 v96, v13, v15
	v_add_f16_e32 v13, v13, v15
	v_add_f16_e32 v91, v91, v92
	v_fmamk_f16 v92, v124, 0x3722, v93
	v_add_f16_e32 v33, v94, v33
	v_add_f16_e32 v94, v12, v14
	v_mul_f16_e32 v15, 0xb836, v96
	v_fma_f16 v93, v124, 0x3722, -v93
	v_fmac_f16_e32 v2, 0x3b29, v29
	v_sub_f16_e32 v12, v12, v14
	v_mul_f16_e32 v14, 0xbacd, v13
	v_fmac_f16_e32 v123, 0xb1e1, v29
	v_fmamk_f16 v29, v94, 0xbacd, v15
	v_add_f16_e32 v7, v93, v7
	v_add_f16_e32 v2, v2, v3
	v_mul_f16_e32 v3, 0x3b29, v96
	v_fmamk_f16 v93, v12, 0x3836, v14
	v_add_f16_e32 v4, v29, v4
	v_fma_f16 v15, v94, 0xbacd, -v15
	v_fmac_f16_e32 v14, 0xb836, v12
	v_fmamk_f16 v29, v94, 0x3722, v3
	v_add_f16_e32 v5, v93, v5
	v_mul_f16_e32 v93, 0x3722, v13
	v_add_f16_e32 v15, v15, v35
	v_add_f16_e32 v14, v14, v32
	;; [unrolled: 1-line block ×3, first 2 shown]
	v_mul_f16_e32 v30, 0xbbf7, v96
	v_fmamk_f16 v32, v12, 0xbb29, v93
	v_fma_f16 v3, v94, 0x3722, -v3
	v_fmac_f16_e32 v93, 0x3b29, v12
	v_mul_f16_e32 v35, 0x2de8, v13
	v_fmamk_f16 v120, v94, 0x2de8, v30
	v_add_f16_e32 v32, v32, v34
	v_add_f16_e32 v3, v3, v6
	v_add_f16_e32 v6, v93, v31
	v_fmamk_f16 v31, v12, 0x3bf7, v35
	v_add_f16_e32 v34, v120, v39
	v_mul_f16_e32 v39, 0x3a62, v96
	v_fma_f16 v30, v94, 0x2de8, -v30
	v_fmac_f16_e32 v35, 0xbbf7, v12
	v_add_f16_e32 v31, v31, v41
	v_mul_f16_e32 v41, 0xb8d2, v13
	v_fmamk_f16 v93, v94, 0xb8d2, v39
	v_add_f16_e32 v36, v30, v36
	v_add_f16_e32 v35, v35, v38
	v_mul_f16_e32 v30, 0xb5c8, v96
	v_fmamk_f16 v38, v12, 0xba62, v41
	v_add_f16_e32 v40, v93, v40
	v_fma_f16 v39, v94, 0xb8d2, -v39
	v_fmac_f16_e32 v41, 0x3a62, v12
	v_fmamk_f16 v93, v94, 0x3b76, v30
	v_add_f16_e32 v38, v38, v42
	v_mul_f16_e32 v42, 0x3b76, v13
	v_add_f16_e32 v37, v39, v37
	v_add_f16_e32 v39, v41, v83
	;; [unrolled: 1-line block ×3, first 2 shown]
	v_mul_f16_e32 v82, 0xb1e1, v96
	v_fmamk_f16 v83, v12, 0x35c8, v42
	v_fma_f16 v30, v94, 0x3b76, -v30
	v_mul_f16_e32 v93, 0xbbdd, v13
	v_fmac_f16_e32 v42, 0xb5c8, v12
	v_fmamk_f16 v120, v94, 0xbbdd, v82
	v_add_f16_e32 v83, v83, v84
	v_add_f16_e32 v80, v30, v80
	v_fmamk_f16 v30, v12, 0x31e1, v93
	v_mul_f16_e32 v84, 0x3964, v96
	v_fma_f16 v82, v94, 0xbbdd, -v82
	v_fmac_f16_e32 v93, 0xb1e1, v12
	v_add_f16_e32 v42, v42, v81
	v_add_f16_e32 v81, v120, v87
	;; [unrolled: 1-line block ×3, first 2 shown]
	v_fmamk_f16 v89, v94, 0x39e9, v84
	v_add_f16_e32 v82, v82, v86
	v_add_f16_e32 v86, v93, v88
	v_mul_f16_e32 v88, 0xbbb2, v96
	v_fma_f16 v85, v124, 0xbbdd, -v85
	v_add_f16_e32 v92, v92, v122
	v_mul_f16_e32 v30, 0x39e9, v13
	v_add_f16_e32 v89, v89, v90
	v_fmamk_f16 v90, v94, 0xb461, v88
	v_add_f16_e32 v85, v85, v95
	v_add_f16_e32 v95, v123, v121
	v_fmamk_f16 v93, v12, 0xb964, v30
	v_fma_f16 v84, v94, 0x39e9, -v84
	v_fmac_f16_e32 v30, 0x3964, v12
	v_mul_f16_e32 v13, 0xb461, v13
	v_add_f16_e32 v90, v90, v92
	v_sub_f16_e32 v92, v10, v11
	v_add_f16_e32 v10, v10, v11
	v_add_f16_e32 v84, v84, v85
	;; [unrolled: 1-line block ×3, first 2 shown]
	v_fmamk_f16 v30, v12, 0x3bb2, v13
	v_add_f16_e32 v11, v8, v9
	v_fmac_f16_e32 v13, 0xbbb2, v12
	v_sub_f16_e32 v8, v8, v9
	v_mul_f16_e32 v9, 0xbbdd, v10
	v_add_f16_e32 v91, v93, v91
	v_fma_f16 v88, v94, 0xb461, -v88
	v_mul_f16_e32 v93, 0xb1e1, v92
	v_add_f16_e32 v94, v30, v33
	v_add_f16_e32 v2, v13, v2
	v_fmamk_f16 v13, v8, 0x31e1, v9
	v_mul_f16_e32 v30, 0x35c8, v92
	v_fmamk_f16 v12, v11, 0xbbdd, v93
	v_mul_f16_e32 v33, 0x3b76, v10
	v_add_f16_e32 v7, v88, v7
	v_add_f16_e32 v5, v13, v5
	v_fmamk_f16 v13, v11, 0x3b76, v30
	v_add_f16_e32 v4, v12, v4
	v_fma_f16 v12, v11, 0xbbdd, -v93
	v_fmac_f16_e32 v9, 0xb1e1, v8
	v_mul_f16_e32 v93, 0xbacd, v10
	v_add_f16_e32 v88, v13, v29
	v_fmamk_f16 v13, v8, 0xb5c8, v33
	v_fmac_f16_e32 v33, 0x35c8, v8
	v_add_f16_e32 v12, v12, v15
	v_add_f16_e32 v14, v9, v14
	v_mul_f16_e32 v9, 0xb836, v92
	v_fma_f16 v15, v11, 0x3b76, -v30
	v_add_f16_e32 v95, v13, v32
	v_add_f16_e32 v30, v33, v6
	v_fmamk_f16 v6, v8, 0x3836, v93
	v_mul_f16_e32 v13, 0x3964, v92
	v_fmamk_f16 v29, v11, 0xbacd, v9
	v_fma_f16 v9, v11, 0xbacd, -v9
	v_fmac_f16_e32 v93, 0xb836, v8
	v_mul_f16_e32 v32, 0x39e9, v10
	v_add_f16_e32 v6, v6, v31
	v_fmamk_f16 v31, v11, 0x39e9, v13
	v_add_f16_e32 v15, v15, v3
	v_add_f16_e32 v3, v29, v34
	;; [unrolled: 1-line block ×4, first 2 shown]
	v_fmamk_f16 v9, v8, 0xb964, v32
	v_mul_f16_e32 v35, 0xba62, v92
	v_add_f16_e32 v36, v31, v40
	v_fma_f16 v13, v11, 0x39e9, -v13
	v_fmac_f16_e32 v32, 0x3964, v8
	v_mul_f16_e32 v40, 0xb8d2, v10
	v_add_f16_e32 v9, v9, v38
	v_fmamk_f16 v38, v11, 0xb8d2, v35
	v_add_f16_e32 v31, v13, v37
	v_add_f16_e32 v33, v32, v39
	v_mul_f16_e32 v37, 0x3b29, v92
	v_fmamk_f16 v13, v8, 0x3a62, v40
	v_fma_f16 v32, v11, 0xb8d2, -v35
	v_fmac_f16_e32 v40, 0xba62, v8
	v_add_f16_e32 v38, v38, v41
	v_fmamk_f16 v35, v11, 0x3722, v37
	v_mul_f16_e32 v39, 0x3722, v10
	v_add_f16_e32 v41, v13, v83
	v_add_f16_e32 v13, v32, v80
	v_add_f16_e32 v32, v40, v42
	v_mul_f16_e32 v42, 0xbbb2, v92
	v_fma_f16 v37, v11, 0x3722, -v37
	v_mul_f16_e32 v80, 0xb461, v10
	v_add_f16_e32 v35, v35, v81
	v_fmamk_f16 v40, v8, 0xbb29, v39
	v_fmac_f16_e32 v39, 0x3b29, v8
	v_fmamk_f16 v81, v11, 0xb461, v42
	v_fma_f16 v42, v11, 0xb461, -v42
	v_mul_f16_e32 v83, 0x3bf7, v92
	v_mul_f16_e32 v10, 0x2de8, v10
	v_add_f16_e32 v37, v37, v82
	v_fmamk_f16 v82, v8, 0x3bb2, v80
	v_add_f16_e32 v39, v39, v86
	v_add_f16_e32 v42, v42, v84
	v_fmac_f16_e32 v80, 0xbbb2, v8
	v_fmamk_f16 v84, v11, 0x2de8, v83
	v_fmamk_f16 v86, v8, 0xbbf7, v10
	v_fma_f16 v11, v11, 0x2de8, -v83
	v_fmac_f16_e32 v10, 0x3bf7, v8
	v_add_f16_e32 v40, v40, v87
	v_add_f16_e32 v81, v81, v89
	;; [unrolled: 1-line block ×8, first 2 shown]
	v_pack_b32_f16 v0, v0, v1
	v_pack_b32_f16 v1, v4, v5
	;; [unrolled: 1-line block ×8, first 2 shown]
	ds_store_2addr_b32 v79, v0, v1 offset1:17
	ds_store_2addr_b32 v79, v4, v3 offset0:34 offset1:51
	ds_store_2addr_b32 v79, v5, v6 offset0:68 offset1:85
	;; [unrolled: 1-line block ×3, first 2 shown]
	v_pack_b32_f16 v0, v80, v83
	v_pack_b32_f16 v1, v7, v2
	;; [unrolled: 1-line block ×9, first 2 shown]
	ds_store_2addr_b32 v79, v0, v1 offset0:136 offset1:153
	ds_store_2addr_b32 v79, v2, v3 offset0:170 offset1:187
	;; [unrolled: 1-line block ×4, first 2 shown]
	ds_store_b32 v79, v8 offset:1088
	v_add_nc_u32_e32 v2, 0x1000, v43
	v_add_nc_u32_e32 v3, 0x1600, v43
	global_wb scope:SCOPE_SE
	s_wait_dscnt 0x0
	s_barrier_signal -1
	s_barrier_wait -1
	global_inv scope:SCOPE_SE
	ds_load_2addr_b32 v[0:1], v43 offset1:102
	ds_load_2addr_b32 v[10:11], v117 offset0:33 offset1:135
	ds_load_2addr_b32 v[8:9], v118 offset0:66 offset1:168
	;; [unrolled: 1-line block ×5, first 2 shown]
	s_and_saveexec_b32 s0, vcc_lo
	s_cbranch_execz .LBB0_7
; %bb.6:
	ds_load_b32 v13, v43 offset:816
	ds_load_b32 v31, v43 offset:1972
	;; [unrolled: 1-line block ×6, first 2 shown]
	s_wait_dscnt 0x5
	v_lshrrev_b32_e32 v32, 16, v13
	s_wait_dscnt 0x4
	v_lshrrev_b32_e32 v33, 16, v31
	s_wait_dscnt 0x3
	v_lshrrev_b32_e32 v34, 16, v29
	s_wait_dscnt 0x2
	v_lshrrev_b32_e32 v30, 16, v15
	s_wait_dscnt 0x1
	v_lshrrev_b32_e32 v14, 16, v12
	s_wait_dscnt 0x0
	v_lshrrev_b32_e32 v116, 16, v115
.LBB0_7:
	s_wait_alu 0xfffe
	s_or_b32 exec_lo, exec_lo, s0
	s_wait_dscnt 0x4
	v_lshrrev_b32_e32 v36, 16, v10
	s_wait_dscnt 0x3
	v_lshrrev_b32_e32 v37, 16, v8
	;; [unrolled: 2-line block ×3, first 2 shown]
	v_mul_f16_e32 v83, v114, v10
	s_wait_dscnt 0x1
	v_lshrrev_b32_e32 v39, 16, v4
	v_mul_f16_e32 v81, v114, v36
	v_mul_f16_e32 v85, v113, v37
	s_wait_dscnt 0x0
	v_lshrrev_b32_e32 v40, 16, v2
	v_lshrrev_b32_e32 v42, 16, v11
	;; [unrolled: 1-line block ×3, first 2 shown]
	v_fmac_f16_e32 v81, v24, v10
	v_mul_f16_e32 v10, v113, v8
	v_fma_f16 v24, v24, v36, -v83
	v_mul_f16_e32 v36, v112, v38
	v_fmac_f16_e32 v85, v25, v8
	v_mul_f16_e32 v8, v112, v6
	v_fma_f16 v10, v25, v37, -v10
	v_mul_f16_e32 v25, v111, v39
	;; [unrolled: 4-line block ×3, first 2 shown]
	v_lshrrev_b32_e32 v80, 16, v7
	v_fmac_f16_e32 v25, v27, v4
	v_mul_f16_e32 v4, v110, v2
	v_fma_f16 v6, v27, v39, -v6
	v_mul_f16_e32 v27, v109, v42
	v_fmac_f16_e32 v26, v104, v2
	v_mul_f16_e32 v2, v109, v11
	v_lshrrev_b32_e32 v82, 16, v5
	v_mul_f16_e32 v37, v108, v79
	v_fmac_f16_e32 v27, v20, v11
	v_mul_f16_e32 v11, v108, v9
	v_fma_f16 v2, v20, v42, -v2
	v_mul_f16_e32 v20, v107, v80
	v_lshrrev_b32_e32 v84, 16, v3
	v_fmac_f16_e32 v37, v21, v9
	v_mul_f16_e32 v9, v107, v7
	v_fma_f16 v11, v21, v79, -v11
	v_mul_f16_e32 v21, v106, v82
	v_fmac_f16_e32 v20, v22, v7
	v_mul_f16_e32 v7, v106, v5
	v_fma_f16 v9, v22, v80, -v9
	v_mul_f16_e32 v22, v105, v84
	v_fmac_f16_e32 v21, v23, v5
	v_lshrrev_b32_e32 v35, 16, v0
	v_fma_f16 v7, v23, v82, -v7
	v_add_f16_e32 v23, v85, v25
	v_fma_f16 v4, v104, v40, -v4
	v_mul_f16_e32 v5, v105, v3
	v_fmac_f16_e32 v22, v103, v3
	v_add_f16_e32 v3, v0, v85
	v_add_f16_e32 v38, v10, v6
	v_fma_f16 v0, -0.5, v23, v0
	v_sub_f16_e32 v23, v10, v6
	v_add_f16_e32 v10, v35, v10
	v_add_f16_e32 v3, v3, v25
	v_fmac_f16_e32 v35, -0.5, v38
	v_sub_f16_e32 v25, v85, v25
	v_fmamk_f16 v38, v23, 0xbaee, v0
	v_fmac_f16_e32 v0, 0x3aee, v23
	v_add_f16_e32 v23, v8, v4
	v_add_f16_e32 v39, v36, v26
	;; [unrolled: 1-line block ×4, first 2 shown]
	v_fmamk_f16 v10, v25, 0x3aee, v35
	v_fmac_f16_e32 v24, -0.5, v23
	v_sub_f16_e32 v23, v36, v26
	v_add_f16_e32 v36, v81, v36
	v_fmac_f16_e32 v81, -0.5, v39
	v_sub_f16_e32 v8, v8, v4
	v_fmac_f16_e32 v35, 0xbaee, v25
	v_fmamk_f16 v25, v23, 0x3aee, v24
	v_fmac_f16_e32 v24, 0xbaee, v23
	v_add_f16_e32 v23, v36, v26
	v_fmamk_f16 v26, v8, 0xbaee, v81
	v_fmac_f16_e32 v81, 0x3aee, v8
	v_mul_f16_e32 v8, 0xbaee, v25
	v_add_f16_e32 v4, v40, v4
	v_mul_f16_e32 v25, 0.5, v25
	v_lshrrev_b32_e32 v41, 16, v1
	v_fma_f16 v5, v103, v84, -v5
	v_mul_f16_e32 v36, 0xbaee, v24
	v_add_f16_e32 v42, v6, v4
	v_fmac_f16_e32 v25, 0x3aee, v26
	v_sub_f16_e32 v4, v6, v4
	v_add_f16_e32 v6, v37, v21
	v_mul_f16_e32 v24, -0.5, v24
	v_add_f16_e32 v39, v3, v23
	v_add_f16_e32 v79, v10, v25
	v_sub_f16_e32 v3, v3, v23
	v_sub_f16_e32 v10, v10, v25
	v_add_f16_e32 v23, v1, v37
	v_add_f16_e32 v25, v11, v7
	v_fmac_f16_e32 v1, -0.5, v6
	v_sub_f16_e32 v6, v11, v7
	v_fmac_f16_e32 v36, -0.5, v81
	v_fmac_f16_e32 v24, 0x3aee, v81
	v_add_f16_e32 v11, v41, v11
	v_fmac_f16_e32 v41, -0.5, v25
	v_fmamk_f16 v25, v6, 0xbaee, v1
	v_fmac_f16_e32 v1, 0x3aee, v6
	v_add_f16_e32 v6, v9, v5
	v_add_f16_e32 v40, v0, v36
	v_add_f16_e32 v80, v35, v24
	v_sub_f16_e32 v0, v0, v36
	v_sub_f16_e32 v24, v35, v24
	v_add_f16_e32 v23, v23, v21
	v_sub_f16_e32 v21, v37, v21
	v_add_f16_e32 v35, v20, v22
	v_add_f16_e32 v36, v2, v9
	v_fmac_f16_e32 v2, -0.5, v6
	v_sub_f16_e32 v6, v20, v22
	v_add_f16_e32 v7, v11, v7
	v_fmamk_f16 v11, v21, 0x3aee, v41
	v_add_f16_e32 v20, v27, v20
	v_fmac_f16_e32 v27, -0.5, v35
	v_sub_f16_e32 v9, v9, v5
	v_fmac_f16_e32 v41, 0xbaee, v21
	v_fmamk_f16 v21, v6, 0x3aee, v2
	v_fmac_f16_e32 v2, 0xbaee, v6
	v_fmac_f16_e32 v8, 0.5, v26
	v_add_f16_e32 v6, v20, v22
	v_fmamk_f16 v20, v9, 0xbaee, v27
	v_fmac_f16_e32 v27, 0x3aee, v9
	v_mul_f16_e32 v9, 0xbaee, v21
	v_mul_f16_e32 v21, 0.5, v21
	v_mul_f16_e32 v22, 0xbaee, v2
	v_mul_f16_e32 v2, -0.5, v2
	v_add_f16_e32 v26, v38, v8
	v_add_f16_e32 v5, v36, v5
	v_fmac_f16_e32 v9, 0.5, v20
	v_fmac_f16_e32 v21, 0x3aee, v20
	v_fmac_f16_e32 v22, -0.5, v27
	v_fmac_f16_e32 v2, 0x3aee, v27
	v_sub_f16_e32 v8, v38, v8
	v_add_f16_e32 v35, v23, v6
	v_add_f16_e32 v20, v25, v9
	;; [unrolled: 1-line block ×4, first 2 shown]
	v_sub_f16_e32 v5, v7, v5
	v_sub_f16_e32 v7, v11, v21
	v_pack_b32_f16 v21, v26, v79
	v_add_f16_e32 v27, v1, v22
	v_add_f16_e32 v38, v41, v2
	v_sub_f16_e32 v1, v1, v22
	v_pack_b32_f16 v22, v40, v80
	v_sub_f16_e32 v6, v23, v6
	v_pack_b32_f16 v3, v3, v4
	;; [unrolled: 2-line block ×4, first 2 shown]
	v_pack_b32_f16 v11, v39, v42
	v_pack_b32_f16 v8, v35, v36
	ds_store_b32 v43, v21 offset:1156
	ds_store_b32 v43, v22 offset:2312
	;; [unrolled: 1-line block ×5, first 2 shown]
	ds_store_2addr_b32 v43, v11, v8 offset1:102
	v_pack_b32_f16 v0, v20, v37
	v_pack_b32_f16 v3, v27, v38
	;; [unrolled: 1-line block ×5, first 2 shown]
	ds_store_b32 v43, v0 offset:1564
	ds_store_b32 v43, v3 offset:2720
	;; [unrolled: 1-line block ×5, first 2 shown]
	s_and_saveexec_b32 s0, vcc_lo
	s_cbranch_execz .LBB0_9
; %bb.8:
	v_mul_f16_e32 v3, v101, v15
	v_mul_f16_e32 v5, v100, v115
	;; [unrolled: 1-line block ×6, first 2 shown]
	v_fma_f16 v3, v18, v30, -v3
	v_mul_f16_e32 v8, v99, v31
	v_fma_f16 v5, v97, v116, -v5
	v_mul_f16_e32 v2, v102, v34
	v_fma_f16 v0, v17, v34, -v0
	v_fma_f16 v1, v19, v14, -v1
	v_mul_f16_e32 v9, v99, v33
	v_fmac_f16_e32 v4, v18, v15
	v_fmac_f16_e32 v6, v97, v115
	v_fma_f16 v8, v16, v33, -v8
	v_add_f16_e32 v10, v3, v5
	v_mul_f16_e32 v11, v98, v14
	v_add_f16_e32 v7, v0, v1
	v_fmac_f16_e32 v9, v16, v31
	v_add_f16_e32 v14, v4, v6
	v_fmac_f16_e32 v2, v17, v29
	v_fma_f16 v10, -0.5, v10, v8
	v_sub_f16_e32 v15, v4, v6
	v_fmac_f16_e32 v11, v19, v12
	v_fma_f16 v12, -0.5, v14, v9
	v_sub_f16_e32 v14, v3, v5
	v_fma_f16 v7, -0.5, v7, v32
	v_fmamk_f16 v16, v15, 0xbaee, v10
	v_sub_f16_e32 v17, v2, v11
	v_fmac_f16_e32 v10, 0x3aee, v15
	v_add_f16_e32 v21, v2, v11
	v_add_f16_e32 v20, v32, v0
	v_fmamk_f16 v18, v14, 0x3aee, v12
	v_fmamk_f16 v19, v17, 0xbaee, v7
	v_fmac_f16_e32 v12, 0xbaee, v14
	v_mul_f16_e32 v14, 0.5, v10
	v_fmac_f16_e32 v7, 0x3aee, v17
	v_add_f16_e32 v3, v8, v3
	v_fma_f16 v17, -0.5, v21, v13
	v_sub_f16_e32 v0, v0, v1
	v_add_f16_e32 v2, v13, v2
	v_add_f16_e32 v4, v9, v4
	v_mul_f16_e32 v9, 0xbaee, v10
	v_mul_f16_e32 v15, -0.5, v16
	v_add_f16_e32 v8, v20, v1
	v_mul_f16_e32 v1, 0xbaee, v16
	v_fmac_f16_e32 v14, 0x3aee, v12
	v_add_f16_e32 v3, v3, v5
	v_fmamk_f16 v20, v0, 0x3aee, v17
	v_fmac_f16_e32 v17, 0xbaee, v0
	v_add_f16_e32 v0, v2, v11
	v_add_f16_e32 v2, v4, v6
	v_fmac_f16_e32 v9, 0.5, v12
	v_fmac_f16_e32 v15, 0x3aee, v18
	v_fmac_f16_e32 v1, -0.5, v18
	v_sub_f16_e32 v16, v7, v14
	v_sub_f16_e32 v18, v8, v3
	v_add_f16_e32 v6, v7, v14
	v_add_f16_e32 v3, v8, v3
	;; [unrolled: 1-line block ×4, first 2 shown]
	v_sub_f16_e32 v10, v20, v1
	v_add_f16_e32 v4, v19, v15
	v_add_f16_e32 v1, v20, v1
	v_sub_f16_e32 v0, v0, v2
	v_sub_f16_e32 v2, v17, v9
	v_sub_f16_e32 v5, v19, v15
	v_pack_b32_f16 v3, v7, v3
	v_pack_b32_f16 v6, v8, v6
	;; [unrolled: 1-line block ×6, first 2 shown]
	ds_store_b32 v43, v3 offset:816
	ds_store_b32 v43, v6 offset:1972
	;; [unrolled: 1-line block ×6, first 2 shown]
.LBB0_9:
	s_wait_alu 0xfffe
	s_or_b32 exec_lo, exec_lo, s0
	global_wb scope:SCOPE_SE
	s_wait_dscnt 0x0
	s_barrier_signal -1
	s_barrier_wait -1
	global_inv scope:SCOPE_SE
	ds_load_2addr_b32 v[0:1], v43 offset1:102
	v_mad_co_u64_u32 v[14:15], null, s4, v71, 0
	v_add_nc_u32_e32 v2, 0x200, v43
	s_mov_b32 s8, 0x8b5e3104
	s_mov_b32 s9, 0x3f42e5b8
	ds_load_2addr_b32 v[2:3], v2 offset0:76 offset1:178
	s_wait_dscnt 0x1
	v_lshrrev_b32_e32 v4, 16, v0
	v_mul_f16_e32 v5, v78, v0
	v_lshrrev_b32_e32 v6, 16, v1
	v_mul_f16_e32 v7, v77, v1
	s_delay_alu instid0(VALU_DEP_4) | instskip(NEXT) | instid1(VALU_DEP_4)
	v_mul_f16_e32 v8, v78, v4
	v_fma_f16 v5, v75, v4, -v5
	s_delay_alu instid0(VALU_DEP_4) | instskip(NEXT) | instid1(VALU_DEP_4)
	v_mul_f16_e32 v9, v77, v6
	v_fma_f16 v4, v74, v6, -v7
	s_wait_dscnt 0x0
	v_lshrrev_b32_e32 v10, 16, v2
	v_fmac_f16_e32 v8, v75, v0
	v_cvt_f32_f16_e32 v5, v5
	v_fmac_f16_e32 v9, v74, v1
	v_cvt_f32_f16_e32 v0, v4
	v_mul_f16_e32 v11, v76, v10
	v_cvt_f32_f16_e32 v8, v8
	v_cvt_f64_f32_e32 v[4:5], v5
	s_delay_alu instid0(VALU_DEP_4) | instskip(NEXT) | instid1(VALU_DEP_4)
	v_cvt_f64_f32_e32 v[6:7], v0
	v_fmac_f16_e32 v11, v73, v2
	s_delay_alu instid0(VALU_DEP_4) | instskip(SKIP_2) | instid1(VALU_DEP_4)
	v_cvt_f64_f32_e32 v[0:1], v8
	v_cvt_f32_f16_e32 v8, v9
	v_mul_f16_e32 v2, v76, v2
	v_cvt_f32_f16_e32 v12, v11
	s_delay_alu instid0(VALU_DEP_3) | instskip(NEXT) | instid1(VALU_DEP_3)
	v_cvt_f64_f32_e32 v[8:9], v8
	v_fma_f16 v2, v73, v10, -v2
	v_mad_co_u64_u32 v[10:11], null, s6, v28, 0
	s_delay_alu instid0(VALU_DEP_4) | instskip(NEXT) | instid1(VALU_DEP_3)
	v_cvt_f64_f32_e32 v[12:13], v12
	v_cvt_f32_f16_e32 v2, v2
	s_delay_alu instid0(VALU_DEP_1) | instskip(NEXT) | instid1(VALU_DEP_4)
	v_cvt_f64_f32_e32 v[16:17], v2
	v_dual_mov_b32 v2, v11 :: v_dual_mov_b32 v11, v15
	s_delay_alu instid0(VALU_DEP_1)
	v_mad_co_u64_u32 v[18:19], null, s7, v28, v[2:3]
	v_lshrrev_b32_e32 v2, 16, v3
	s_wait_alu 0xfffe
	v_mul_f64_e32 v[4:5], s[8:9], v[4:5]
	v_mul_f64_e32 v[6:7], s[8:9], v[6:7]
	;; [unrolled: 1-line block ×4, first 2 shown]
	v_mad_co_u64_u32 v[19:20], null, s5, v71, v[11:12]
	v_mov_b32_e32 v11, v18
	v_mul_f16_e32 v18, v72, v2
	s_delay_alu instid0(VALU_DEP_2) | instskip(NEXT) | instid1(VALU_DEP_2)
	v_lshlrev_b64_e32 v[10:11], 2, v[10:11]
	v_fmac_f16_e32 v18, v69, v3
	v_mul_f64_e32 v[16:17], s[8:9], v[16:17]
	v_mul_f16_e32 v3, v72, v3
	s_delay_alu instid0(VALU_DEP_3) | instskip(NEXT) | instid1(VALU_DEP_2)
	v_cvt_f32_f16_e32 v18, v18
	v_fma_f16 v2, v69, v2, -v3
	s_delay_alu instid0(VALU_DEP_1)
	v_cvt_f32_f16_e32 v2, v2
	v_and_or_b32 v4, 0x1ff, v5, v4
	v_and_or_b32 v6, 0x1ff, v7, v6
	v_bfe_u32 v21, v7, 20, 11
	v_and_or_b32 v0, 0x1ff, v1, v0
	v_lshrrev_b32_e32 v22, 8, v1
	v_bfe_u32 v23, v1, 20, 11
	v_lshrrev_b32_e32 v1, 16, v1
	v_sub_nc_u32_e32 v27, 0x3f1, v21
	v_bfe_u32 v26, v9, 20, 11
	v_mov_b32_e32 v15, v19
	v_add_co_u32 v19, vcc_lo, s2, v10
	s_wait_alu 0xfffd
	v_add_co_ci_u32_e32 v20, vcc_lo, s3, v11, vcc_lo
	v_mul_f64_e32 v[10:11], s[8:9], v[12:13]
	v_lshlrev_b64_e32 v[14:15], 2, v[14:15]
	v_and_or_b32 v8, 0x1ff, v9, v8
	v_sub_nc_u32_e32 v28, 0x3f1, v23
	v_add_nc_u32_e32 v23, 0xfffffc10, v23
	v_lshrrev_b32_e32 v25, 8, v9
	v_add_co_u32 v12, vcc_lo, v19, v14
	s_wait_alu 0xfffd
	v_add_co_ci_u32_e32 v13, vcc_lo, v20, v15, vcc_lo
	v_cmp_ne_u32_e32 vcc_lo, 0, v4
	v_cvt_f64_f32_e32 v[14:15], v18
	v_lshrrev_b32_e32 v18, 8, v5
	v_bfe_u32 v19, v5, 20, 11
	v_lshrrev_b32_e32 v20, 8, v7
	s_wait_alu 0xfffd
	v_cndmask_b32_e64 v4, 0, 1, vcc_lo
	v_cmp_ne_u32_e32 vcc_lo, 0, v6
	v_lshrrev_b32_e32 v5, 16, v5
	v_sub_nc_u32_e32 v24, 0x3f1, v19
	v_lshrrev_b32_e32 v7, 16, v7
	v_and_or_b32 v4, 0xffe, v18, v4
	s_wait_alu 0xfffd
	v_cndmask_b32_e64 v6, 0, 1, vcc_lo
	v_cmp_ne_u32_e32 vcc_lo, 0, v0
	v_med3_i32 v18, v24, 0, 13
	v_sub_nc_u32_e32 v24, 0x3f1, v26
	v_add_nc_u32_e32 v26, 0xfffffc10, v26
	v_and_or_b32 v6, 0xffe, v20, v6
	s_wait_alu 0xfffd
	v_cndmask_b32_e64 v0, 0, 1, vcc_lo
	v_cmp_ne_u32_e32 vcc_lo, 0, v8
	v_med3_i32 v20, v27, 0, 13
	v_med3_i32 v24, v24, 0, 13
	s_delay_alu instid0(VALU_DEP_4)
	v_and_or_b32 v0, 0xffe, v22, v0
	s_wait_alu 0xfffd
	v_cndmask_b32_e64 v8, 0, 1, vcc_lo
	v_cmp_ne_u32_e32 vcc_lo, 0, v4
	v_med3_i32 v22, v28, 0, 13
	v_or_b32_e32 v28, 0x1000, v4
	v_and_or_b32 v10, 0x1ff, v11, v10
	v_lshl_or_b32 v34, v23, 12, v0
	v_add_nc_u32_e32 v19, 0xfffffc10, v19
	v_lshrrev_b32_e32 v27, 8, v11
	v_and_or_b32 v8, 0xffe, v25, v8
	v_or_b32_e32 v33, 0x1000, v0
	v_lshrrev_b32_e32 v35, v18, v28
	v_lshl_or_b32 v30, v19, 12, v4
	s_wait_alu 0xfffd
	v_cndmask_b32_e64 v4, 0, 1, vcc_lo
	v_cmp_ne_u32_e32 vcc_lo, 0, v10
	v_or_b32_e32 v25, 0x1000, v6
	v_lshlrev_b32_e32 v18, v18, v35
	v_or_b32_e32 v36, 0x1000, v8
	v_lshl_or_b32 v37, v26, 12, v8
	s_wait_alu 0xfffd
	v_cndmask_b32_e64 v10, 0, 1, vcc_lo
	v_cmp_ne_u32_e32 vcc_lo, 0, v0
	v_lshrrev_b32_e32 v38, v20, v25
	v_lshrrev_b32_e32 v39, v24, v36
	v_lshl_or_b32 v4, v4, 9, 0x7c00
	v_and_or_b32 v10, 0xffe, v27, v10
	s_wait_alu 0xfffd
	v_cndmask_b32_e64 v0, 0, 1, vcc_lo
	v_cmp_ne_u32_e32 vcc_lo, 0, v8
	v_lshrrev_b32_e32 v27, v22, v33
	v_lshlrev_b32_e32 v20, v20, v38
	v_lshlrev_b32_e32 v24, v24, v39
	v_lshl_or_b32 v0, v0, 9, 0x7c00
	s_wait_alu 0xfffd
	v_cndmask_b32_e64 v8, 0, 1, vcc_lo
	v_lshlrev_b32_e32 v22, v22, v27
	v_cmp_ne_u32_e32 vcc_lo, v18, v28
	v_bfe_u32 v29, v11, 20, 11
	v_lshrrev_b32_e32 v11, 16, v11
	v_lshl_or_b32 v8, v8, 9, 0x7c00
	s_wait_alu 0xfffd
	v_cndmask_b32_e64 v18, 0, 1, vcc_lo
	v_cmp_ne_u32_e32 vcc_lo, v22, v33
	v_sub_nc_u32_e32 v32, 0x3f1, v29
	s_delay_alu instid0(VALU_DEP_3) | instskip(SKIP_4) | instid1(VALU_DEP_3)
	v_or_b32_e32 v18, v35, v18
	s_wait_alu 0xfffd
	v_cndmask_b32_e64 v22, 0, 1, vcc_lo
	v_cmp_ne_u32_e32 vcc_lo, v20, v25
	v_med3_i32 v32, v32, 0, 13
	v_or_b32_e32 v22, v27, v22
	s_wait_alu 0xfffd
	v_cndmask_b32_e64 v20, 0, 1, vcc_lo
	v_cmp_ne_u32_e32 vcc_lo, v24, v36
	s_delay_alu instid0(VALU_DEP_2) | instskip(SKIP_3) | instid1(VALU_DEP_2)
	v_or_b32_e32 v20, v38, v20
	s_wait_alu 0xfffd
	v_cndmask_b32_e64 v24, 0, 1, vcc_lo
	v_cmp_gt_i32_e32 vcc_lo, 1, v23
	v_or_b32_e32 v24, v39, v24
	s_wait_alu 0xfffd
	v_cndmask_b32_e32 v22, v34, v22, vcc_lo
	v_cmp_gt_i32_e32 vcc_lo, 1, v19
	s_wait_alu 0xfffd
	v_dual_cndmask_b32 v18, v30, v18 :: v_dual_add_nc_u32 v21, 0xfffffc10, v21
	s_delay_alu instid0(VALU_DEP_1) | instskip(SKIP_1) | instid1(VALU_DEP_3)
	v_lshl_or_b32 v31, v21, 12, v6
	v_cmp_gt_i32_e32 vcc_lo, 1, v21
	v_and_b32_e32 v27, 7, v18
	v_lshrrev_b32_e32 v18, 2, v18
	s_wait_alu 0xfffd
	v_cndmask_b32_e32 v20, v31, v20, vcc_lo
	v_cmp_gt_i32_e32 vcc_lo, 1, v26
	v_and_b32_e32 v25, 7, v22
	v_lshrrev_b32_e32 v22, 2, v22
	v_cmp_lt_i32_e64 s1, 5, v27
	v_cmp_eq_u32_e64 s2, 3, v27
	s_wait_alu 0xfffd
	v_cndmask_b32_e32 v24, v37, v24, vcc_lo
	v_cmp_lt_i32_e32 vcc_lo, 5, v25
	v_cmp_eq_u32_e64 s0, 3, v25
	s_delay_alu instid0(VALU_DEP_1)
	s_or_b32 vcc_lo, s0, vcc_lo
	v_cmp_gt_i32_e64 s0, 31, v19
	s_wait_alu 0xfffe
	v_add_co_ci_u32_e32 v22, vcc_lo, 0, v22, vcc_lo
	s_or_b32 vcc_lo, s2, s1
	v_cmp_eq_u32_e64 s1, 0x40f, v19
	s_wait_alu 0xfffe
	v_add_co_ci_u32_e32 v18, vcc_lo, 0, v18, vcc_lo
	v_cmp_gt_i32_e32 vcc_lo, 31, v23
	v_and_b32_e32 v25, 7, v24
	s_mul_u64 s[2:3], s[4:5], 0x198
	s_delay_alu instid0(VALU_DEP_3)
	v_cndmask_b32_e64 v18, 0x7c00, v18, s0
	v_cmp_eq_u32_e64 s0, 0x40f, v23
	s_wait_alu 0xfffd
	v_cndmask_b32_e32 v22, 0x7c00, v22, vcc_lo
	v_cmp_lt_i32_e32 vcc_lo, 5, v25
	v_cndmask_b32_e64 v4, v18, v4, s1
	v_or_b32_e32 v18, 0x1000, v10
	s_wait_alu 0xf1ff
	v_cndmask_b32_e64 v0, v22, v0, s0
	v_cmp_eq_u32_e64 s0, 3, v25
	v_lshrrev_b32_e32 v22, 2, v24
	v_and_or_b32 v4, 0x8000, v5, v4
	v_and_b32_e32 v5, 7, v20
	v_and_or_b32 v0, 0x8000, v1, v0
	s_or_b32 vcc_lo, s0, vcc_lo
	v_cmp_eq_u32_e64 s1, 0x40f, v26
	s_wait_alu 0xfffe
	v_add_co_ci_u32_e32 v1, vcc_lo, 0, v22, vcc_lo
	v_and_b32_e32 v0, 0xffff, v0
	v_cmp_gt_i32_e32 vcc_lo, 31, v26
	v_cmp_eq_u32_e64 s0, 3, v5
	s_delay_alu instid0(VALU_DEP_3)
	v_lshl_or_b32 v0, v4, 16, v0
	s_wait_alu 0xfffd
	v_cndmask_b32_e32 v1, 0x7c00, v1, vcc_lo
	v_cmp_lt_i32_e32 vcc_lo, 5, v5
	v_lshrrev_b32_e32 v5, 16, v9
	v_and_or_b32 v9, 0x1ff, v17, v16
	global_store_b32 v[12:13], v0, off
	v_lshrrev_b32_e32 v0, 2, v20
	s_or_b32 vcc_lo, s0, vcc_lo
	v_cndmask_b32_e64 v4, v1, v8, s1
	v_lshrrev_b32_e32 v1, v32, v18
	s_wait_alu 0xfffe
	v_add_co_ci_u32_e32 v0, vcc_lo, 0, v0, vcc_lo
	v_cmp_ne_u32_e32 vcc_lo, 0, v6
	s_delay_alu instid0(VALU_DEP_3) | instskip(SKIP_4) | instid1(VALU_DEP_3)
	v_lshlrev_b32_e32 v8, v32, v1
	v_and_or_b32 v4, 0x8000, v5, v4
	s_wait_alu 0xfffd
	v_cndmask_b32_e64 v6, 0, 1, vcc_lo
	v_cmp_gt_i32_e32 vcc_lo, 31, v21
	v_and_b32_e32 v19, 0xffff, v4
	s_delay_alu instid0(VALU_DEP_3)
	v_lshl_or_b32 v6, v6, 9, 0x7c00
	s_wait_alu 0xfffd
	v_cndmask_b32_e32 v0, 0x7c00, v0, vcc_lo
	v_cmp_ne_u32_e32 vcc_lo, v8, v18
	v_add_nc_u32_e32 v8, 0xfffffc10, v29
	s_wait_alu 0xfffd
	v_cndmask_b32_e64 v3, 0, 1, vcc_lo
	v_cmp_eq_u32_e32 vcc_lo, 0x40f, v21
	s_delay_alu instid0(VALU_DEP_3) | instskip(NEXT) | instid1(VALU_DEP_3)
	v_lshl_or_b32 v18, v8, 12, v10
	v_or_b32_e32 v16, v1, v3
	s_wait_alu 0xfffd
	v_cndmask_b32_e32 v6, v0, v6, vcc_lo
	v_cmp_ne_u32_e32 vcc_lo, 0, v9
	v_mul_f64_e32 v[0:1], s[8:9], v[14:15]
	v_lshrrev_b32_e32 v14, 8, v17
	v_bfe_u32 v15, v17, 20, 11
	v_cvt_f64_f32_e32 v[2:3], v2
	s_wait_alu 0xfffd
	v_cndmask_b32_e64 v9, 0, 1, vcc_lo
	v_cmp_gt_i32_e32 vcc_lo, 1, v8
	v_and_or_b32 v6, 0x8000, v7, v6
	v_lshrrev_b32_e32 v17, 16, v17
	s_delay_alu instid0(VALU_DEP_4)
	v_and_or_b32 v9, 0xffe, v14, v9
	s_wait_alu 0xfffd
	v_cndmask_b32_e32 v16, v18, v16, vcc_lo
	v_sub_nc_u32_e32 v14, 0x3f1, v15
	v_add_nc_u32_e32 v18, 0x400, v43
	v_or_b32_e32 v7, 0x1000, v9
	s_delay_alu instid0(VALU_DEP_4) | instskip(NEXT) | instid1(VALU_DEP_4)
	v_and_b32_e32 v5, 7, v16
	v_med3_i32 v14, v14, 0, 13
	s_delay_alu instid0(VALU_DEP_2)
	v_cmp_lt_i32_e32 vcc_lo, 5, v5
	v_cmp_eq_u32_e64 s0, 3, v5
	ds_load_2addr_b32 v[4:5], v18 offset0:152 offset1:254
	v_lshl_or_b32 v18, v6, 16, v19
	v_lshrrev_b32_e32 v6, 2, v16
	v_lshrrev_b32_e32 v20, v14, v7
	s_or_b32 vcc_lo, s0, vcc_lo
	s_wait_alu 0xfffe
	s_delay_alu instid0(VALU_DEP_2) | instskip(NEXT) | instid1(VALU_DEP_2)
	v_add_co_ci_u32_e32 v6, vcc_lo, 0, v6, vcc_lo
	v_lshlrev_b32_e32 v14, v14, v20
	v_cmp_ne_u32_e32 vcc_lo, 0, v10
	s_wait_alu 0xfffd
	v_cndmask_b32_e64 v10, 0, 1, vcc_lo
	s_delay_alu instid0(VALU_DEP_3)
	v_cmp_ne_u32_e32 vcc_lo, v14, v7
	v_add_nc_u32_e32 v14, 0xfffffc10, v15
	v_and_or_b32 v0, 0x1ff, v1, v0
	v_mul_f64_e32 v[2:3], s[8:9], v[2:3]
	s_wait_dscnt 0x0
	v_lshrrev_b32_e32 v16, 16, v4
	s_wait_alu 0xfffd
	v_cndmask_b32_e64 v7, 0, 1, vcc_lo
	v_cmp_gt_i32_e32 vcc_lo, 31, v8
	v_lshl_or_b32 v15, v14, 12, v9
	v_lshl_or_b32 v10, v10, 9, 0x7c00
	v_mul_f16_e32 v19, v70, v16
	v_or_b32_e32 v7, v20, v7
	s_wait_alu 0xfffd
	v_cndmask_b32_e32 v6, 0x7c00, v6, vcc_lo
	v_cmp_gt_i32_e32 vcc_lo, 1, v14
	v_bfe_u32 v20, v1, 20, 11
	v_fmac_f16_e32 v19, v67, v4
	v_mul_f16_e32 v4, v70, v4
	s_wait_alu 0xfffd
	v_cndmask_b32_e32 v7, v15, v7, vcc_lo
	v_cmp_ne_u32_e32 vcc_lo, 0, v0
	v_lshrrev_b32_e32 v15, 8, v1
	v_fma_f16 v4, v67, v16, -v4
	v_add_nc_u32_e32 v16, 0xfffffc10, v20
	v_lshrrev_b32_e32 v21, 2, v7
	s_wait_alu 0xfffd
	v_cndmask_b32_e64 v0, 0, 1, vcc_lo
	v_cmp_eq_u32_e32 vcc_lo, 0x40f, v8
	v_cvt_f32_f16_e32 v4, v4
	s_delay_alu instid0(VALU_DEP_3)
	v_and_or_b32 v0, 0xffe, v15, v0
	s_wait_alu 0xfffd
	v_cndmask_b32_e32 v8, v6, v10, vcc_lo
	v_and_b32_e32 v6, 7, v7
	v_sub_nc_u32_e32 v10, 0x3f1, v20
	v_cvt_f32_f16_e32 v15, v19
	v_or_b32_e32 v19, 0x1000, v0
	v_and_or_b32 v11, 0x8000, v11, v8
	v_cmp_lt_i32_e32 vcc_lo, 5, v6
	v_cmp_eq_u32_e64 s0, 3, v6
	v_med3_i32 v10, v10, 0, 13
	v_cvt_f64_f32_e32 v[6:7], v15
	s_delay_alu instid0(VALU_DEP_3) | instskip(NEXT) | instid1(VALU_DEP_2)
	s_or_b32 vcc_lo, s0, vcc_lo
	v_lshrrev_b32_e32 v8, v10, v19
	s_wait_alu 0xfffe
	v_add_co_ci_u32_e32 v15, vcc_lo, 0, v21, vcc_lo
	v_cmp_ne_u32_e32 vcc_lo, 0, v9
	v_and_or_b32 v2, 0x1ff, v3, v2
	v_lshlrev_b32_e32 v10, v10, v8
	v_lshrrev_b32_e32 v25, 16, v3
	s_wait_alu 0xfffd
	v_cndmask_b32_e64 v9, 0, 1, vcc_lo
	v_cmp_gt_i32_e32 vcc_lo, 31, v14
	s_delay_alu instid0(VALU_DEP_2)
	v_lshl_or_b32 v9, v9, 9, 0x7c00
	s_wait_alu 0xfffd
	v_cndmask_b32_e32 v15, 0x7c00, v15, vcc_lo
	v_cmp_ne_u32_e32 vcc_lo, v10, v19
	v_bfe_u32 v19, v3, 20, 11
	s_wait_alu 0xfffd
	v_cndmask_b32_e64 v10, 0, 1, vcc_lo
	v_cmp_eq_u32_e32 vcc_lo, 0x40f, v14
	s_delay_alu instid0(VALU_DEP_2)
	v_or_b32_e32 v10, v8, v10
	s_wait_alu 0xfffd
	v_cndmask_b32_e32 v14, v15, v9, vcc_lo
	v_cmp_ne_u32_e32 vcc_lo, 0, v2
	v_cvt_f64_f32_e32 v[8:9], v4
	v_lshl_or_b32 v4, v16, 12, v0
	v_lshrrev_b32_e32 v15, 8, v3
	v_and_or_b32 v14, 0x8000, v17, v14
	s_wait_alu 0xfffd
	v_cndmask_b32_e64 v2, 0, 1, vcc_lo
	v_cmp_gt_i32_e32 vcc_lo, 1, v16
	v_mul_f64_e32 v[6:7], s[8:9], v[6:7]
	s_delay_alu instid0(VALU_DEP_3)
	v_and_or_b32 v2, 0xffe, v15, v2
	s_wait_alu 0xfffd
	v_cndmask_b32_e32 v4, v4, v10, vcc_lo
	v_sub_nc_u32_e32 v10, 0x3f1, v19
	v_and_b32_e32 v15, 0xffff, v11
	v_or_b32_e32 v20, 0x1000, v2
	s_delay_alu instid0(VALU_DEP_3) | instskip(SKIP_3) | instid1(VALU_DEP_3)
	v_med3_i32 v21, v10, 0, 13
	v_add_co_u32 v10, vcc_lo, v12, s2
	s_wait_alu 0xfffd
	v_add_co_ci_u32_e32 v11, vcc_lo, s3, v13, vcc_lo
	v_lshrrev_b32_e32 v12, v21, v20
	v_lshl_or_b32 v14, v14, 16, v15
	v_lshrrev_b32_e32 v15, 16, v5
	s_delay_alu instid0(VALU_DEP_3) | instskip(SKIP_2) | instid1(VALU_DEP_2)
	v_lshlrev_b32_e32 v13, v21, v12
	v_and_b32_e32 v17, 7, v4
	v_lshrrev_b32_e32 v4, 2, v4
	v_cmp_lt_i32_e32 vcc_lo, 5, v17
	v_cmp_eq_u32_e64 s0, 3, v17
	s_delay_alu instid0(VALU_DEP_1)
	s_or_b32 vcc_lo, s0, vcc_lo
	v_mul_f64_e32 v[8:9], s[8:9], v[8:9]
	s_wait_alu 0xfffe
	v_add_co_ci_u32_e32 v4, vcc_lo, 0, v4, vcc_lo
	v_cmp_ne_u32_e32 vcc_lo, v13, v20
	v_and_or_b32 v6, 0x1ff, v7, v6
	s_wait_alu 0xfffd
	v_cndmask_b32_e64 v13, 0, 1, vcc_lo
	v_cmp_ne_u32_e32 vcc_lo, 0, v0
	s_delay_alu instid0(VALU_DEP_3) | instskip(NEXT) | instid1(VALU_DEP_3)
	v_cmp_ne_u32_e64 s1, 0, v6
	v_or_b32_e32 v12, v12, v13
	v_add_nc_u32_e32 v17, 0xfffffc10, v19
	v_mul_f16_e32 v19, v68, v15
	s_wait_alu 0xfffd
	v_cndmask_b32_e64 v0, 0, 1, vcc_lo
	v_cmp_gt_i32_e32 vcc_lo, 31, v16
	s_wait_alu 0xf1ff
	v_cndmask_b32_e64 v6, 0, 1, s1
	v_lshl_or_b32 v13, v17, 12, v2
	v_fmac_f16_e32 v19, v65, v5
	v_lshl_or_b32 v0, v0, 9, 0x7c00
	s_wait_alu 0xfffd
	v_cndmask_b32_e32 v4, 0x7c00, v4, vcc_lo
	v_cmp_gt_i32_e32 vcc_lo, 1, v17
	v_mul_f16_e32 v5, v68, v5
	s_wait_alu 0xfffd
	v_cndmask_b32_e32 v20, v13, v12, vcc_lo
	v_cvt_f32_f16_e32 v12, v19
	v_cmp_eq_u32_e32 vcc_lo, 0x40f, v16
	v_lshrrev_b32_e32 v16, 16, v1
	v_fma_f16 v5, v65, v15, -v5
	v_and_b32_e32 v19, 7, v20
	s_wait_alu 0xfffd
	v_cndmask_b32_e32 v4, v4, v0, vcc_lo
	v_cvt_f64_f32_e32 v[0:1], v12
	v_add_co_u32 v12, vcc_lo, v10, s2
	s_wait_alu 0xfffd
	v_add_co_ci_u32_e32 v13, vcc_lo, s3, v11, vcc_lo
	v_cmp_lt_i32_e32 vcc_lo, 5, v19
	v_cmp_eq_u32_e64 s0, 3, v19
	v_and_or_b32 v16, 0x8000, v16, v4
	v_lshrrev_b32_e32 v4, 2, v20
	v_lshrrev_b32_e32 v19, 8, v7
	v_bfe_u32 v20, v7, 20, 11
	s_or_b32 vcc_lo, s0, vcc_lo
	v_and_or_b32 v8, 0x1ff, v9, v8
	s_wait_alu 0xfffe
	v_add_co_ci_u32_e32 v4, vcc_lo, 0, v4, vcc_lo
	v_and_or_b32 v6, 0xffe, v19, v6
	v_sub_nc_u32_e32 v19, 0x3f1, v20
	v_cmp_ne_u32_e32 vcc_lo, 0, v2
	v_cvt_f32_f16_e32 v5, v5
	v_lshrrev_b32_e32 v23, 8, v9
	v_or_b32_e32 v15, 0x1000, v6
	v_med3_i32 v19, v19, 0, 13
	s_wait_alu 0xfffd
	v_cndmask_b32_e64 v2, 0, 1, vcc_lo
	v_cmp_gt_i32_e32 vcc_lo, 31, v17
	v_bfe_u32 v24, v9, 20, 11
	v_and_b32_e32 v16, 0xffff, v16
	v_lshrrev_b32_e32 v22, v19, v15
	v_lshl_or_b32 v2, v2, 9, 0x7c00
	s_wait_alu 0xfffd
	v_cndmask_b32_e32 v21, 0x7c00, v4, vcc_lo
	v_cmp_ne_u32_e32 vcc_lo, 0, v8
	v_cvt_f64_f32_e32 v[4:5], v5
	v_lshlrev_b32_e32 v19, v19, v22
	s_wait_alu 0xfffd
	v_cndmask_b32_e64 v8, 0, 1, vcc_lo
	v_cmp_eq_u32_e32 vcc_lo, 0x40f, v17
	v_mul_f64_e32 v[0:1], s[8:9], v[0:1]
	s_delay_alu instid0(VALU_DEP_3)
	v_and_or_b32 v8, 0xffe, v23, v8
	s_wait_alu 0xfffd
	v_cndmask_b32_e32 v17, v21, v2, vcc_lo
	v_sub_nc_u32_e32 v2, 0x3f1, v24
	v_cmp_ne_u32_e32 vcc_lo, v19, v15
	v_add_nc_u32_e32 v19, 0xfffffc10, v20
	v_or_b32_e32 v20, 0x1000, v8
	v_add_nc_u32_e32 v21, 0x800, v43
	v_med3_i32 v23, v2, 0, 13
	s_wait_alu 0xfffd
	v_cndmask_b32_e64 v15, 0, 1, vcc_lo
	v_cmp_gt_i32_e32 vcc_lo, 1, v19
	v_and_or_b32 v17, 0x8000, v25, v17
	ds_load_2addr_b32 v[2:3], v21 offset0:100 offset1:202
	v_lshrrev_b32_e32 v21, v23, v20
	v_or_b32_e32 v15, v22, v15
	v_lshl_or_b32 v22, v19, 12, v6
	s_clause 0x1
	global_store_b32 v[10:11], v18, off
	global_store_b32 v[12:13], v14, off
	v_lshl_or_b32 v14, v17, 16, v16
	s_wait_alu 0xfffd
	v_dual_cndmask_b32 v15, v22, v15 :: v_dual_add_nc_u32 v16, 0xfffffc10, v24
	v_lshlrev_b32_e32 v22, v23, v21
	s_delay_alu instid0(VALU_DEP_2) | instskip(NEXT) | instid1(VALU_DEP_2)
	v_and_b32_e32 v10, 7, v15
	v_cmp_ne_u32_e32 vcc_lo, v22, v20
	s_delay_alu instid0(VALU_DEP_2)
	v_cmp_eq_u32_e64 s0, 3, v10
	s_wait_alu 0xfffd
	v_cndmask_b32_e64 v11, 0, 1, vcc_lo
	v_cmp_lt_i32_e32 vcc_lo, 5, v10
	v_lshrrev_b32_e32 v10, 2, v15
	v_lshl_or_b32 v15, v16, 12, v8
	v_mul_f64_e32 v[4:5], s[8:9], v[4:5]
	v_or_b32_e32 v11, v21, v11
	s_or_b32 vcc_lo, s0, vcc_lo
	s_wait_dscnt 0x0
	v_lshrrev_b32_e32 v17, 16, v2
	s_wait_alu 0xfffe
	v_add_co_ci_u32_e32 v10, vcc_lo, 0, v10, vcc_lo
	v_cmp_gt_i32_e32 vcc_lo, 1, v16
	v_and_or_b32 v0, 0x1ff, v1, v0
	v_bfe_u32 v21, v1, 20, 11
	s_wait_alu 0xfffd
	v_cndmask_b32_e32 v15, v15, v11, vcc_lo
	v_cmp_gt_i32_e32 vcc_lo, 31, v19
	v_mul_f16_e32 v11, v66, v17
	v_sub_nc_u32_e32 v22, 0x3f1, v21
	s_delay_alu instid0(VALU_DEP_4)
	v_and_b32_e32 v20, 7, v15
	s_wait_alu 0xfffd
	v_cndmask_b32_e32 v18, 0x7c00, v10, vcc_lo
	v_cmp_ne_u32_e32 vcc_lo, 0, v0
	v_fmac_f16_e32 v11, v63, v2
	v_lshrrev_b32_e32 v10, 8, v1
	v_cmp_eq_u32_e64 s0, 3, v20
	v_lshrrev_b32_e32 v15, 2, v15
	s_wait_alu 0xfffd
	v_cndmask_b32_e64 v0, 0, 1, vcc_lo
	v_cmp_ne_u32_e32 vcc_lo, 0, v6
	v_cvt_f32_f16_e32 v11, v11
	v_med3_i32 v22, v22, 0, 13
	v_mul_f16_e32 v2, v66, v2
	v_and_or_b32 v0, 0xffe, v10, v0
	s_wait_alu 0xfffd
	v_cndmask_b32_e64 v6, 0, 1, vcc_lo
	v_cmp_lt_i32_e32 vcc_lo, 5, v20
	v_cvt_f64_f32_e32 v[10:11], v11
	v_fma_f16 v2, v63, v17, -v2
	v_or_b32_e32 v20, 0x1000, v0
	v_lshl_or_b32 v6, v6, 9, 0x7c00
	s_or_b32 vcc_lo, s0, vcc_lo
	v_lshrrev_b32_e32 v1, 16, v1
	s_wait_alu 0xfffe
	v_add_co_ci_u32_e32 v15, vcc_lo, 0, v15, vcc_lo
	v_cmp_eq_u32_e32 vcc_lo, 0x40f, v19
	v_and_or_b32 v4, 0x1ff, v5, v4
	v_lshrrev_b32_e32 v19, 16, v7
	v_bfe_u32 v23, v5, 20, 11
	v_cvt_f32_f16_e32 v2, v2
	s_wait_alu 0xfffd
	v_cndmask_b32_e32 v18, v18, v6, vcc_lo
	v_cmp_gt_i32_e32 vcc_lo, 31, v16
	v_lshrrev_b32_e32 v6, v22, v20
	s_wait_alu 0xfffd
	v_cndmask_b32_e32 v15, 0x7c00, v15, vcc_lo
	v_cmp_ne_u32_e32 vcc_lo, 0, v8
	s_delay_alu instid0(VALU_DEP_3)
	v_lshlrev_b32_e32 v7, v22, v6
	v_lshrrev_b32_e32 v22, 8, v5
	v_add_nc_u32_e32 v17, 0xfffffc10, v21
	v_lshrrev_b32_e32 v5, 16, v5
	s_wait_alu 0xfffd
	v_cndmask_b32_e64 v8, 0, 1, vcc_lo
	v_cmp_ne_u32_e32 vcc_lo, 0, v4
	s_wait_alu 0xfffd
	v_cndmask_b32_e64 v4, 0, 1, vcc_lo
	v_cmp_ne_u32_e32 vcc_lo, v7, v20
	v_sub_nc_u32_e32 v20, 0x3f1, v23
	s_delay_alu instid0(VALU_DEP_3)
	v_and_or_b32 v4, 0xffe, v22, v4
	s_wait_alu 0xfffd
	v_cndmask_b32_e64 v7, 0, 1, vcc_lo
	v_lshl_or_b32 v22, v17, 12, v0
	v_med3_i32 v20, v20, 0, 13
	v_cmp_gt_i32_e32 vcc_lo, 1, v17
	v_or_b32_e32 v24, 0x1000, v4
	v_or_b32_e32 v21, v6, v7
	v_cvt_f64_f32_e32 v[6:7], v2
	v_mul_f64_e32 v[10:11], s[8:9], v[10:11]
	v_lshl_or_b32 v2, v8, 9, 0x7c00
	s_wait_alu 0xfffd
	v_cndmask_b32_e32 v21, v22, v21, vcc_lo
	v_lshrrev_b32_e32 v22, v20, v24
	v_cmp_eq_u32_e32 vcc_lo, 0x40f, v16
	s_delay_alu instid0(VALU_DEP_3) | instskip(NEXT) | instid1(VALU_DEP_3)
	v_and_b32_e32 v16, 7, v21
	v_lshlrev_b32_e32 v20, v20, v22
	s_wait_alu 0xfffd
	v_cndmask_b32_e32 v2, v15, v2, vcc_lo
	v_add_co_u32 v8, vcc_lo, v12, s2
	v_and_or_b32 v12, 0x8000, v19, v18
	v_cmp_ne_u32_e64 s0, v20, v24
	v_lshrrev_b32_e32 v15, 16, v9
	s_wait_alu 0xfffd
	v_add_co_ci_u32_e32 v9, vcc_lo, s3, v13, vcc_lo
	v_cmp_lt_i32_e32 vcc_lo, 5, v16
	s_wait_alu 0xf1ff
	v_cndmask_b32_e64 v13, 0, 1, s0
	v_cmp_eq_u32_e64 s0, 3, v16
	v_and_b32_e32 v16, 0xffff, v12
	v_lshrrev_b32_e32 v12, 2, v21
	v_and_or_b32 v2, 0x8000, v15, v2
	v_add_nc_u32_e32 v15, 0xfffffc10, v23
	s_or_b32 vcc_lo, s0, vcc_lo
	v_or_b32_e32 v13, v22, v13
	s_wait_alu 0xfffe
	v_add_co_ci_u32_e32 v12, vcc_lo, 0, v12, vcc_lo
	v_lshl_or_b32 v18, v15, 12, v4
	v_cmp_gt_i32_e32 vcc_lo, 1, v15
	v_lshl_or_b32 v16, v2, 16, v16
	global_store_b32 v[8:9], v14, off
	s_wait_alu 0xfffd
	v_cndmask_b32_e32 v13, v18, v13, vcc_lo
	v_cmp_ne_u32_e32 vcc_lo, 0, v0
	v_lshrrev_b32_e32 v18, 16, v3
	v_mul_f64_e32 v[6:7], s[8:9], v[6:7]
	v_and_or_b32 v10, 0x1ff, v11, v10
	v_bfe_u32 v21, v11, 20, 11
	s_wait_alu 0xfffd
	v_cndmask_b32_e64 v0, 0, 1, vcc_lo
	v_cmp_gt_i32_e32 vcc_lo, 31, v17
	v_mul_f16_e32 v20, v64, v18
	v_cmp_ne_u32_e64 s1, 0, v10
	s_delay_alu instid0(VALU_DEP_4)
	v_lshl_or_b32 v0, v0, 9, 0x7c00
	s_wait_alu 0xfffd
	v_dual_cndmask_b32 v19, 0x7c00, v12 :: v_dual_and_b32 v12, 7, v13
	v_fmac_f16_e32 v20, v61, v3
	s_wait_alu 0xf1ff
	v_cndmask_b32_e64 v10, 0, 1, s1
	s_delay_alu instid0(VALU_DEP_3)
	v_cmp_lt_i32_e32 vcc_lo, 5, v12
	v_cmp_eq_u32_e64 s0, 3, v12
	v_lshrrev_b32_e32 v12, 2, v13
	v_lshrrev_b32_e32 v13, 8, v11
	v_cvt_f32_f16_e32 v20, v20
	v_lshrrev_b32_e32 v11, 16, v11
	s_or_b32 vcc_lo, s0, vcc_lo
	s_wait_alu 0xfffe
	v_add_co_ci_u32_e32 v22, vcc_lo, 0, v12, vcc_lo
	v_and_or_b32 v10, 0xffe, v13, v10
	v_cvt_f64_f32_e32 v[12:13], v20
	v_sub_nc_u32_e32 v20, 0x3f1, v21
	v_cmp_ne_u32_e32 vcc_lo, 0, v4
	s_delay_alu instid0(VALU_DEP_4) | instskip(NEXT) | instid1(VALU_DEP_3)
	v_or_b32_e32 v23, 0x1000, v10
	v_med3_i32 v20, v20, 0, 13
	s_wait_alu 0xfffd
	v_cndmask_b32_e64 v4, 0, 1, vcc_lo
	v_cmp_gt_i32_e32 vcc_lo, 31, v15
	s_delay_alu instid0(VALU_DEP_2)
	v_lshl_or_b32 v4, v4, 9, 0x7c00
	s_wait_alu 0xfffd
	v_cndmask_b32_e32 v22, 0x7c00, v22, vcc_lo
	v_cmp_eq_u32_e32 vcc_lo, 0x40f, v17
	v_lshrrev_b32_e32 v17, v20, v23
	s_wait_alu 0xfffd
	v_cndmask_b32_e32 v0, v19, v0, vcc_lo
	v_cmp_eq_u32_e32 vcc_lo, 0x40f, v15
	s_delay_alu instid0(VALU_DEP_3) | instskip(NEXT) | instid1(VALU_DEP_3)
	v_lshlrev_b32_e32 v2, v20, v17
	v_and_or_b32 v14, 0x8000, v1, v0
	s_wait_alu 0xfffd
	v_cndmask_b32_e32 v4, v22, v4, vcc_lo
	v_mul_f16_e32 v0, v64, v3
	v_and_or_b32 v1, 0x1ff, v7, v6
	v_cmp_ne_u32_e32 vcc_lo, v2, v23
	v_add_nc_u32_e32 v6, 0xfffffc10, v21
	v_lshrrev_b32_e32 v3, 8, v7
	v_fma_f16 v0, v61, v18, -v0
	v_bfe_u32 v18, v7, 20, 11
	s_wait_alu 0xfffd
	v_cndmask_b32_e64 v2, 0, 1, vcc_lo
	v_cmp_ne_u32_e32 vcc_lo, 0, v1
	v_and_or_b32 v15, 0x8000, v5, v4
	v_cvt_f32_f16_e32 v0, v0
	v_lshl_or_b32 v19, v6, 12, v10
	v_or_b32_e32 v17, v17, v2
	s_wait_alu 0xfffd
	v_cndmask_b32_e64 v1, 0, 1, vcc_lo
	v_sub_nc_u32_e32 v4, 0x3f1, v18
	v_cmp_gt_i32_e32 vcc_lo, 1, v6
	v_add_nc_u32_e32 v5, 0xc00, v43
	v_add_nc_u32_e32 v18, 0xfffffc10, v18
	v_and_or_b32 v20, 0xffe, v3, v1
	v_cvt_f64_f32_e32 v[0:1], v0
	v_mul_f64_e32 v[2:3], s[8:9], v[12:13]
	v_med3_i32 v12, v4, 0, 13
	s_wait_alu 0xfffd
	v_dual_cndmask_b32 v14, v19, v17 :: v_dual_and_b32 v13, 0xffff, v14
	ds_load_2addr_b32 v[4:5], v5 offset0:48 offset1:150
	v_or_b32_e32 v21, 0x1000, v20
	v_add_co_u32 v8, vcc_lo, v8, s2
	s_wait_alu 0xfffd
	v_add_co_ci_u32_e32 v9, vcc_lo, s3, v9, vcc_lo
	s_delay_alu instid0(VALU_DEP_3) | instskip(SKIP_3) | instid1(VALU_DEP_4)
	v_lshrrev_b32_e32 v17, v12, v21
	v_lshl_or_b32 v19, v15, 16, v13
	v_and_b32_e32 v15, 7, v14
	v_lshrrev_b32_e32 v14, 2, v14
	v_lshlrev_b32_e32 v22, v12, v17
	v_add_co_u32 v12, vcc_lo, v8, s2
	s_wait_alu 0xfffd
	v_add_co_ci_u32_e32 v13, vcc_lo, s3, v9, vcc_lo
	v_cmp_lt_i32_e32 vcc_lo, 5, v15
	v_cmp_eq_u32_e64 s0, 3, v15
	v_cmp_ne_u32_e64 s1, v22, v21
	global_store_b32 v[8:9], v16, off
	global_store_b32 v[12:13], v19, off
	s_wait_dscnt 0x0
	v_lshrrev_b32_e32 v21, 16, v4
	s_or_b32 vcc_lo, s0, vcc_lo
	v_cndmask_b32_e64 v15, 0, 1, s1
	s_wait_alu 0xfffe
	v_add_co_ci_u32_e32 v14, vcc_lo, 0, v14, vcc_lo
	v_cmp_ne_u32_e32 vcc_lo, 0, v10
	v_mul_f16_e32 v22, v62, v21
	v_or_b32_e32 v15, v17, v15
	v_lshl_or_b32 v17, v18, 12, v20
	s_wait_alu 0xfffd
	v_cndmask_b32_e64 v10, 0, 1, vcc_lo
	v_cmp_gt_i32_e32 vcc_lo, 1, v18
	v_fmac_f16_e32 v22, v60, v4
	v_mul_f64_e32 v[0:1], s[8:9], v[0:1]
	v_and_or_b32 v2, 0x1ff, v3, v2
	v_lshl_or_b32 v10, v10, 9, 0x7c00
	s_wait_alu 0xfffd
	v_cndmask_b32_e32 v17, v17, v15, vcc_lo
	v_cmp_gt_i32_e32 vcc_lo, 31, v6
	v_cvt_f32_f16_e32 v15, v22
	v_lshrrev_b32_e32 v24, 8, v3
	v_bfe_u32 v25, v3, 20, 11
	s_wait_alu 0xfffd
	v_dual_cndmask_b32 v22, 0x7c00, v14 :: v_dual_and_b32 v23, 7, v17
	v_cmp_ne_u32_e32 vcc_lo, 0, v2
	v_cvt_f64_f32_e32 v[14:15], v15
	v_lshrrev_b32_e32 v17, 2, v17
	s_delay_alu instid0(VALU_DEP_4) | instskip(SKIP_4) | instid1(VALU_DEP_3)
	v_cmp_eq_u32_e64 s0, 3, v23
	v_mul_f16_e32 v4, v62, v4
	s_wait_alu 0xfffd
	v_cndmask_b32_e64 v2, 0, 1, vcc_lo
	v_cmp_eq_u32_e32 vcc_lo, 0x40f, v6
	v_fma_f16 v4, v60, v21, -v4
	s_delay_alu instid0(VALU_DEP_3)
	v_and_or_b32 v2, 0xffe, v24, v2
	s_wait_alu 0xfffd
	v_dual_cndmask_b32 v6, v22, v10 :: v_dual_add_nc_u32 v21, 0xfffffc10, v25
	v_cmp_lt_i32_e32 vcc_lo, 5, v23
	v_sub_nc_u32_e32 v10, 0x3f1, v25
	v_or_b32_e32 v22, 0x1000, v2
	s_delay_alu instid0(VALU_DEP_4)
	v_and_or_b32 v24, 0x8000, v11, v6
	v_cvt_f32_f16_e32 v4, v4
	s_or_b32 vcc_lo, s0, vcc_lo
	v_med3_i32 v10, v10, 0, 13
	s_wait_alu 0xfffe
	v_add_co_ci_u32_e32 v17, vcc_lo, 0, v17, vcc_lo
	v_cmp_ne_u32_e32 vcc_lo, 0, v20
	s_delay_alu instid0(VALU_DEP_3) | instskip(SKIP_3) | instid1(VALU_DEP_3)
	v_lshrrev_b32_e32 v23, v10, v22
	s_wait_alu 0xfffd
	v_cndmask_b32_e64 v20, 0, 1, vcc_lo
	v_cmp_gt_i32_e32 vcc_lo, 31, v18
	v_lshlrev_b32_e32 v6, v10, v23
	v_and_or_b32 v0, 0x1ff, v1, v0
	s_delay_alu instid0(VALU_DEP_4)
	v_lshl_or_b32 v20, v20, 9, 0x7c00
	s_wait_alu 0xfffd
	v_cndmask_b32_e32 v17, 0x7c00, v17, vcc_lo
	v_cmp_eq_u32_e32 vcc_lo, 0x40f, v18
	v_lshrrev_b32_e32 v18, 16, v7
	s_wait_alu 0xfffd
	s_delay_alu instid0(VALU_DEP_3)
	v_cndmask_b32_e32 v17, v17, v20, vcc_lo
	v_cmp_ne_u32_e32 vcc_lo, v6, v22
	v_cvt_f64_f32_e32 v[6:7], v4
	v_mul_f64_e32 v[10:11], s[8:9], v[14:15]
	v_lshrrev_b32_e32 v4, 8, v1
	v_bfe_u32 v14, v1, 20, 11
	s_wait_alu 0xfffd
	v_cndmask_b32_e64 v20, 0, 1, vcc_lo
	v_cmp_ne_u32_e32 vcc_lo, 0, v0
	v_and_or_b32 v15, 0x8000, v18, v17
	v_lshl_or_b32 v18, v21, 12, v2
	v_lshrrev_b32_e32 v1, 16, v1
	v_or_b32_e32 v17, v23, v20
	s_wait_alu 0xfffd
	v_cndmask_b32_e64 v0, 0, 1, vcc_lo
	v_cmp_gt_i32_e32 vcc_lo, 1, v21
	v_and_b32_e32 v20, 0xffff, v24
	s_delay_alu instid0(VALU_DEP_3)
	v_and_or_b32 v0, 0xffe, v4, v0
	v_sub_nc_u32_e32 v4, 0x3f1, v14
	s_wait_alu 0xfffd
	v_cndmask_b32_e32 v17, v18, v17, vcc_lo
	v_add_co_u32 v8, vcc_lo, v12, s2
	v_or_b32_e32 v18, 0x1000, v0
	v_med3_i32 v4, v4, 0, 13
	s_delay_alu instid0(VALU_DEP_4)
	v_and_b32_e32 v16, 7, v17
	s_wait_alu 0xfffd
	v_add_co_ci_u32_e32 v9, vcc_lo, s3, v13, vcc_lo
	v_lshrrev_b32_e32 v12, 2, v17
	v_lshrrev_b32_e32 v19, v4, v18
	v_cmp_lt_i32_e32 vcc_lo, 5, v16
	v_cmp_eq_u32_e64 s0, 3, v16
	v_lshrrev_b32_e32 v16, 16, v5
	v_add_nc_u32_e32 v14, 0xfffffc10, v14
	v_lshlrev_b32_e32 v4, v4, v19
	v_lshl_or_b32 v15, v15, 16, v20
	s_or_b32 vcc_lo, s0, vcc_lo
	v_mul_f16_e32 v13, v59, v16
	s_wait_alu 0xfffe
	v_add_co_ci_u32_e32 v17, vcc_lo, 0, v12, vcc_lo
	v_cmp_ne_u32_e64 s1, v4, v18
	v_cmp_ne_u32_e32 vcc_lo, 0, v2
	v_mul_f64_e32 v[6:7], s[8:9], v[6:7]
	v_lshl_or_b32 v12, v14, 12, v0
	v_and_or_b32 v10, 0x1ff, v11, v10
	s_wait_alu 0xf1ff
	v_cndmask_b32_e64 v4, 0, 1, s1
	s_wait_alu 0xfffd
	v_cndmask_b32_e64 v2, 0, 1, vcc_lo
	v_cmp_gt_i32_e32 vcc_lo, 1, v14
	v_fmac_f16_e32 v13, v58, v5
	v_lshrrev_b32_e32 v18, 8, v11
	v_or_b32_e32 v4, v19, v4
	v_bfe_u32 v19, v11, 20, 11
	v_lshl_or_b32 v2, v2, 9, 0x7c00
	v_cvt_f32_f16_e32 v13, v13
	v_cmp_eq_u32_e64 s1, 0x40f, v21
	s_wait_alu 0xfffd
	v_cndmask_b32_e32 v4, v12, v4, vcc_lo
	v_cmp_ne_u32_e32 vcc_lo, 0, v10
	global_store_b32 v[8:9], v15, off
	v_cvt_f64_f32_e32 v[12:13], v13
	v_lshrrev_b32_e32 v11, 16, v11
	v_and_b32_e32 v20, 7, v4
	s_wait_alu 0xfffd
	v_cndmask_b32_e64 v10, 0, 1, vcc_lo
	v_cmp_gt_i32_e32 vcc_lo, 31, v21
	v_lshrrev_b32_e32 v21, 16, v3
	v_mul_f16_e32 v3, v59, v5
	v_cmp_eq_u32_e64 s0, 3, v20
	v_and_or_b32 v10, 0xffe, v18, v10
	s_wait_alu 0xfffd
	v_cndmask_b32_e32 v17, 0x7c00, v17, vcc_lo
	v_sub_nc_u32_e32 v18, 0x3f1, v19
	v_cmp_lt_i32_e32 vcc_lo, 5, v20
	v_or_b32_e32 v20, 0x1000, v10
	s_wait_alu 0xf1ff
	v_cndmask_b32_e64 v17, v17, v2, s1
	v_lshrrev_b32_e32 v2, 2, v4
	v_med3_i32 v18, v18, 0, 13
	s_or_b32 vcc_lo, s0, vcc_lo
	s_delay_alu instid0(VALU_DEP_3)
	v_and_or_b32 v17, 0x8000, v21, v17
	s_wait_alu 0xfffe
	v_add_co_ci_u32_e32 v2, vcc_lo, 0, v2, vcc_lo
	v_lshrrev_b32_e32 v22, v18, v20
	v_cmp_ne_u32_e32 vcc_lo, 0, v0
	v_bfe_u32 v23, v7, 20, 11
	v_and_b32_e32 v17, 0xffff, v17
	s_delay_alu instid0(VALU_DEP_4) | instskip(SKIP_3) | instid1(VALU_DEP_2)
	v_lshlrev_b32_e32 v4, v18, v22
	s_wait_alu 0xfffd
	v_cndmask_b32_e64 v0, 0, 1, vcc_lo
	v_cmp_gt_i32_e32 vcc_lo, 31, v14
	v_lshl_or_b32 v0, v0, 9, 0x7c00
	s_wait_alu 0xfffd
	v_cndmask_b32_e32 v18, 0x7c00, v2, vcc_lo
	v_fma_f16 v2, v58, v16, -v3
	v_and_or_b32 v3, 0x1ff, v7, v6
	v_cmp_ne_u32_e32 vcc_lo, v4, v20
	v_add_nc_u32_e32 v16, 0xfffffc10, v19
	v_lshrrev_b32_e32 v20, 8, v7
	v_cvt_f32_f16_e32 v4, v2
	s_wait_alu 0xfffd
	v_cndmask_b32_e64 v6, 0, 1, vcc_lo
	v_cmp_ne_u32_e32 vcc_lo, 0, v3
	v_mul_f64_e32 v[2:3], s[8:9], v[12:13]
	v_sub_nc_u32_e32 v12, 0x3f1, v23
	v_lshl_or_b32 v13, v16, 12, v10
	v_or_b32_e32 v6, v22, v6
	s_wait_alu 0xfffd
	v_cndmask_b32_e64 v19, 0, 1, vcc_lo
	v_cmp_eq_u32_e32 vcc_lo, 0x40f, v14
	v_cvt_f64_f32_e32 v[4:5], v4
	s_delay_alu instid0(VALU_DEP_3)
	v_and_or_b32 v14, 0xffe, v20, v19
	s_wait_alu 0xfffd
	v_cndmask_b32_e32 v0, v18, v0, vcc_lo
	v_add_nc_u32_e32 v18, 0xe00, v43
	v_med3_i32 v20, v12, 0, 13
	v_cmp_gt_i32_e32 vcc_lo, 1, v16
	v_or_b32_e32 v19, 0x1000, v14
	v_and_or_b32 v15, 0x8000, v1, v0
	s_wait_alu 0xfffd
	v_cndmask_b32_e32 v6, v13, v6, vcc_lo
	ds_load_2addr_b32 v[12:13], v18 offset0:124 offset1:226
	v_lshrrev_b32_e32 v18, v20, v19
	v_lshl_or_b32 v17, v15, 16, v17
	v_lshrrev_b32_e32 v1, 2, v6
	s_delay_alu instid0(VALU_DEP_3) | instskip(NEXT) | instid1(VALU_DEP_1)
	v_lshlrev_b32_e32 v0, v20, v18
	v_cmp_ne_u32_e64 s1, v0, v19
	s_wait_alu 0xf1ff
	s_delay_alu instid0(VALU_DEP_1) | instskip(SKIP_3) | instid1(VALU_DEP_4)
	v_cndmask_b32_e64 v0, 0, 1, s1
	v_cmp_eq_u32_e64 s1, 0x40f, v16
	v_and_or_b32 v2, 0x1ff, v3, v2
	v_bfe_u32 v22, v3, 20, 11
	v_or_b32_e32 v0, v18, v0
	v_and_b32_e32 v21, 7, v6
	v_add_nc_u32_e32 v6, 0xfffffc10, v23
	s_wait_dscnt 0x0
	v_lshrrev_b32_e32 v18, 16, v12
	s_delay_alu instid0(VALU_DEP_3) | instskip(SKIP_1) | instid1(VALU_DEP_3)
	v_cmp_lt_i32_e32 vcc_lo, 5, v21
	v_cmp_eq_u32_e64 s0, 3, v21
	v_mul_f16_e32 v21, v57, v18
	s_delay_alu instid0(VALU_DEP_2) | instskip(NEXT) | instid1(VALU_DEP_1)
	s_or_b32 vcc_lo, s0, vcc_lo
	v_fmac_f16_e32 v21, v55, v12
	s_wait_alu 0xfffe
	v_add_co_ci_u32_e32 v19, vcc_lo, 0, v1, vcc_lo
	v_cmp_ne_u32_e32 vcc_lo, 0, v10
	v_lshl_or_b32 v1, v6, 12, v14
	s_wait_alu 0xfffd
	v_cndmask_b32_e64 v10, 0, 1, vcc_lo
	v_cmp_gt_i32_e32 vcc_lo, 1, v6
	s_delay_alu instid0(VALU_DEP_2)
	v_lshl_or_b32 v10, v10, 9, 0x7c00
	s_wait_alu 0xfffd
	v_cndmask_b32_e32 v20, v1, v0, vcc_lo
	v_mul_f64_e32 v[0:1], s[8:9], v[4:5]
	v_cmp_gt_i32_e32 vcc_lo, 31, v16
	v_cvt_f32_f16_e32 v5, v21
	v_lshrrev_b32_e32 v21, 8, v3
	v_and_b32_e32 v4, 7, v20
	v_lshrrev_b32_e32 v16, 2, v20
	s_wait_alu 0xfffd
	v_cndmask_b32_e32 v19, 0x7c00, v19, vcc_lo
	v_cmp_ne_u32_e32 vcc_lo, 0, v2
	v_lshrrev_b32_e32 v3, 16, v3
	v_cmp_eq_u32_e64 s0, 3, v4
	s_delay_alu instid0(VALU_DEP_4)
	v_cndmask_b32_e64 v10, v19, v10, s1
	s_wait_alu 0xfffd
	v_cndmask_b32_e64 v2, 0, 1, vcc_lo
	v_cmp_lt_i32_e32 vcc_lo, 5, v4
	v_cvt_f64_f32_e32 v[4:5], v5
	v_and_or_b32 v10, 0x8000, v11, v10
	s_delay_alu instid0(VALU_DEP_4)
	v_and_or_b32 v2, 0xffe, v21, v2
	v_sub_nc_u32_e32 v21, 0x3f1, v22
	s_or_b32 vcc_lo, s0, vcc_lo
	s_wait_alu 0xfffe
	v_add_co_ci_u32_e32 v16, vcc_lo, 0, v16, vcc_lo
	v_or_b32_e32 v19, 0x1000, v2
	v_med3_i32 v20, v21, 0, 13
	v_cmp_ne_u32_e32 vcc_lo, 0, v14
	v_and_b32_e32 v10, 0xffff, v10
	s_delay_alu instid0(VALU_DEP_3) | instskip(SKIP_3) | instid1(VALU_DEP_3)
	v_lshrrev_b32_e32 v21, v20, v19
	s_wait_alu 0xfffd
	v_cndmask_b32_e64 v14, 0, 1, vcc_lo
	v_cmp_gt_i32_e32 vcc_lo, 31, v6
	v_lshlrev_b32_e32 v11, v20, v21
	s_delay_alu instid0(VALU_DEP_3)
	v_lshl_or_b32 v14, v14, 9, 0x7c00
	s_wait_alu 0xfffd
	v_cndmask_b32_e32 v16, 0x7c00, v16, vcc_lo
	v_cmp_eq_u32_e32 vcc_lo, 0x40f, v6
	v_mul_f16_e32 v6, v57, v12
	v_and_or_b32 v0, 0x1ff, v1, v0
	v_lshrrev_b32_e32 v12, 16, v7
	v_bfe_u32 v15, v1, 20, 11
	s_wait_alu 0xfffd
	v_cndmask_b32_e32 v14, v16, v14, vcc_lo
	v_cmp_ne_u32_e32 vcc_lo, v11, v19
	v_fma_f16 v6, v55, v18, -v6
	v_lshrrev_b32_e32 v11, 8, v1
	v_add_nc_u32_e32 v18, 0xfffffc10, v22
	v_and_or_b32 v12, 0x8000, v12, v14
	s_wait_alu 0xfffd
	v_cndmask_b32_e64 v7, 0, 1, vcc_lo
	v_cmp_ne_u32_e32 vcc_lo, 0, v0
	v_cvt_f32_f16_e32 v6, v6
	v_lshl_or_b32 v19, v18, 12, v2
	v_mul_f64_e32 v[4:5], s[8:9], v[4:5]
	v_or_b32_e32 v16, v21, v7
	s_wait_alu 0xfffd
	v_cndmask_b32_e64 v0, 0, 1, vcc_lo
	v_cvt_f64_f32_e32 v[6:7], v6
	v_cmp_gt_i32_e32 vcc_lo, 1, v18
	s_delay_alu instid0(VALU_DEP_3)
	v_and_or_b32 v0, 0xffe, v11, v0
	v_sub_nc_u32_e32 v11, 0x3f1, v15
	s_wait_alu 0xfffd
	v_cndmask_b32_e32 v14, v19, v16, vcc_lo
	v_add_co_u32 v8, vcc_lo, v8, s2
	v_or_b32_e32 v20, 0x1000, v0
	v_med3_i32 v11, v11, 0, 13
	s_wait_alu 0xfffd
	v_add_co_ci_u32_e32 v9, vcc_lo, s3, v9, vcc_lo
	v_lshl_or_b32 v19, v12, 16, v10
	v_and_b32_e32 v12, 7, v14
	v_lshrrev_b32_e32 v16, v11, v20
	v_add_co_u32 v10, vcc_lo, v8, s2
	s_delay_alu instid0(VALU_DEP_3) | instskip(NEXT) | instid1(VALU_DEP_3)
	v_cmp_eq_u32_e64 s0, 3, v12
	v_lshlrev_b32_e32 v21, v11, v16
	s_wait_alu 0xfffd
	v_add_co_ci_u32_e32 v11, vcc_lo, s3, v9, vcc_lo
	v_cmp_lt_i32_e32 vcc_lo, 5, v12
	v_lshrrev_b32_e32 v12, 2, v14
	v_cmp_ne_u32_e64 s1, v21, v20
	v_lshrrev_b32_e32 v21, 16, v13
	v_add_nc_u32_e32 v20, 0xfffffc10, v15
	s_or_b32 vcc_lo, s0, vcc_lo
	s_delay_alu instid0(VALU_DEP_3)
	v_cndmask_b32_e64 v14, 0, 1, s1
	s_wait_alu 0xfffe
	v_add_co_ci_u32_e32 v12, vcc_lo, 0, v12, vcc_lo
	v_cmp_ne_u32_e32 vcc_lo, 0, v2
	v_lshl_or_b32 v15, v20, 12, v0
	v_or_b32_e32 v14, v16, v14
	v_mul_f16_e32 v16, v56, v21
	v_and_or_b32 v4, 0x1ff, v5, v4
	s_wait_alu 0xfffd
	v_cndmask_b32_e64 v2, 0, 1, vcc_lo
	v_cmp_gt_i32_e32 vcc_lo, 1, v20
	v_mul_f64_e32 v[6:7], s[8:9], v[6:7]
	v_fmac_f16_e32 v16, v54, v13
	v_bfe_u32 v24, v5, 20, 11
	v_lshl_or_b32 v2, v2, 9, 0x7c00
	s_wait_alu 0xfffd
	v_cndmask_b32_e32 v22, v15, v14, vcc_lo
	v_cmp_gt_i32_e32 vcc_lo, 31, v18
	v_cvt_f32_f16_e32 v14, v16
	v_lshrrev_b32_e32 v16, 8, v5
	v_mul_f16_e32 v13, v56, v13
	s_wait_alu 0xfffd
	v_dual_cndmask_b32 v12, 0x7c00, v12 :: v_dual_and_b32 v23, 7, v22
	v_cmp_ne_u32_e32 vcc_lo, 0, v4
	v_cvt_f64_f32_e32 v[14:15], v14
	v_fma_f16 v13, v54, v21, -v13
	s_delay_alu instid0(VALU_DEP_4) | instskip(SKIP_4) | instid1(VALU_DEP_3)
	v_cmp_eq_u32_e64 s0, 3, v23
	s_wait_alu 0xfffd
	v_cndmask_b32_e64 v4, 0, 1, vcc_lo
	v_cmp_eq_u32_e32 vcc_lo, 0x40f, v18
	v_cvt_f32_f16_e32 v13, v13
	v_and_or_b32 v4, 0xffe, v16, v4
	s_wait_alu 0xfffd
	v_cndmask_b32_e32 v2, v12, v2, vcc_lo
	v_cmp_lt_i32_e32 vcc_lo, 5, v23
	v_lshrrev_b32_e32 v16, 2, v22
	v_sub_nc_u32_e32 v12, 0x3f1, v24
	v_or_b32_e32 v18, 0x1000, v4
	v_and_or_b32 v22, 0x8000, v3, v2
	s_or_b32 vcc_lo, s0, vcc_lo
	v_cvt_f64_f32_e32 v[2:3], v13
	s_wait_alu 0xfffe
	v_add_co_ci_u32_e32 v16, vcc_lo, 0, v16, vcc_lo
	v_med3_i32 v12, v12, 0, 13
	v_cmp_ne_u32_e32 vcc_lo, 0, v0
	s_delay_alu instid0(VALU_DEP_2)
	v_lshrrev_b32_e32 v21, v12, v18
	s_wait_alu 0xfffd
	v_cndmask_b32_e64 v0, 0, 1, vcc_lo
	v_cmp_gt_i32_e32 vcc_lo, 31, v20
	v_bfe_u32 v25, v7, 20, 11
	v_lshlrev_b32_e32 v12, v12, v21
	s_delay_alu instid0(VALU_DEP_4)
	v_lshl_or_b32 v0, v0, 9, 0x7c00
	s_wait_alu 0xfffd
	v_cndmask_b32_e32 v16, 0x7c00, v16, vcc_lo
	v_cmp_eq_u32_e32 vcc_lo, 0x40f, v20
	v_lshrrev_b32_e32 v20, 16, v1
	s_wait_alu 0xfffd
	s_delay_alu instid0(VALU_DEP_3)
	v_cndmask_b32_e32 v16, v16, v0, vcc_lo
	v_and_or_b32 v0, 0x1ff, v7, v6
	v_cmp_ne_u32_e32 vcc_lo, v12, v18
	v_add_nc_u32_e32 v12, 0x1200, v43
	v_add_nc_u32_e32 v18, 0xfffffc10, v24
	v_lshrrev_b32_e32 v24, 8, v7
	v_lshrrev_b32_e32 v7, 16, v7
	s_wait_alu 0xfffd
	v_cndmask_b32_e64 v6, 0, 1, vcc_lo
	v_cmp_ne_u32_e32 vcc_lo, 0, v0
	v_mul_f64_e32 v[0:1], s[8:9], v[14:15]
	ds_load_2addr_b32 v[12:13], v12 offset0:72 offset1:174
	v_and_or_b32 v14, 0x8000, v20, v16
	v_or_b32_e32 v6, v21, v6
	s_wait_alu 0xfffd
	v_cndmask_b32_e64 v23, 0, 1, vcc_lo
	v_lshl_or_b32 v15, v18, 12, v4
	v_sub_nc_u32_e32 v20, 0x3f1, v25
	v_cmp_gt_i32_e32 vcc_lo, 1, v18
	global_store_b32 v[8:9], v17, off
	global_store_b32 v[10:11], v19, off
	v_and_or_b32 v16, 0xffe, v24, v23
	v_and_b32_e32 v21, 0xffff, v22
	v_med3_i32 v20, v20, 0, 13
	s_wait_alu 0xfffd
	v_cndmask_b32_e32 v6, v15, v6, vcc_lo
	v_add_co_u32 v8, vcc_lo, v10, s2
	v_or_b32_e32 v15, 0x1000, v16
	s_wait_alu 0xfffd
	v_add_co_ci_u32_e32 v9, vcc_lo, s3, v11, vcc_lo
	v_and_b32_e32 v17, 7, v6
	v_lshl_or_b32 v14, v14, 16, v21
	v_lshrrev_b32_e32 v19, v20, v15
	s_wait_dscnt 0x0
	v_lshrrev_b32_e32 v21, 16, v12
	v_mul_f64_e32 v[2:3], s[8:9], v[2:3]
	v_cmp_lt_i32_e32 vcc_lo, 5, v17
	v_cmp_eq_u32_e64 s0, 3, v17
	v_lshlrev_b32_e32 v10, v20, v19
	v_lshrrev_b32_e32 v6, 2, v6
	v_mul_f16_e32 v11, v53, v21
	global_store_b32 v[8:9], v14, off
	s_or_b32 vcc_lo, s0, vcc_lo
	v_cmp_ne_u32_e64 s1, v10, v15
	s_wait_alu 0xfffe
	v_add_co_ci_u32_e32 v6, vcc_lo, 0, v6, vcc_lo
	v_add_nc_u32_e32 v15, 0xfffffc10, v25
	v_cmp_ne_u32_e32 vcc_lo, 0, v4
	s_wait_alu 0xf1ff
	v_cndmask_b32_e64 v10, 0, 1, s1
	v_fmac_f16_e32 v11, v52, v12
	v_mul_f16_e32 v12, v53, v12
	v_and_or_b32 v0, 0x1ff, v1, v0
	s_wait_alu 0xfffd
	v_cndmask_b32_e64 v4, 0, 1, vcc_lo
	v_or_b32_e32 v17, v19, v10
	v_lshl_or_b32 v19, v15, 12, v16
	v_cmp_gt_i32_e32 vcc_lo, 1, v15
	v_cvt_f32_f16_e32 v10, v11
	v_bfe_u32 v20, v1, 20, 11
	v_lshl_or_b32 v4, v4, 9, 0x7c00
	v_fma_f16 v12, v52, v21, -v12
	s_wait_alu 0xfffd
	v_cndmask_b32_e32 v17, v19, v17, vcc_lo
	v_cmp_ne_u32_e32 vcc_lo, 0, v0
	v_cvt_f64_f32_e32 v[10:11], v10
	v_lshrrev_b32_e32 v19, 8, v1
	v_cvt_f32_f16_e32 v12, v12
	v_and_b32_e32 v22, 7, v17
	s_wait_alu 0xfffd
	v_cndmask_b32_e64 v0, 0, 1, vcc_lo
	v_cmp_gt_i32_e32 vcc_lo, 31, v18
	v_lshrrev_b32_e32 v1, 16, v1
	v_cmp_eq_u32_e64 s0, 3, v22
	s_delay_alu instid0(VALU_DEP_4)
	v_and_or_b32 v0, 0xffe, v19, v0
	s_wait_alu 0xfffd
	v_cndmask_b32_e32 v6, 0x7c00, v6, vcc_lo
	v_sub_nc_u32_e32 v19, 0x3f1, v20
	v_cmp_eq_u32_e32 vcc_lo, 0x40f, v18
	v_and_or_b32 v2, 0x1ff, v3, v2
	v_bfe_u32 v21, v3, 20, 11
	v_add_nc_u32_e32 v20, 0xfffffc10, v20
	v_med3_i32 v18, v19, 0, 13
	s_wait_alu 0xfffd
	v_cndmask_b32_e32 v6, v6, v4, vcc_lo
	v_or_b32_e32 v4, 0x1000, v0
	v_cmp_lt_i32_e32 vcc_lo, 5, v22
	v_lshrrev_b32_e32 v19, 16, v5
	v_lshrrev_b32_e32 v5, 2, v17
	v_add_nc_u32_e32 v14, 0xfffffc10, v21
	v_lshrrev_b32_e32 v17, v18, v4
	s_or_b32 vcc_lo, s0, vcc_lo
	v_and_or_b32 v6, 0x8000, v19, v6
	s_wait_alu 0xfffe
	v_add_co_ci_u32_e32 v22, vcc_lo, 0, v5, vcc_lo
	v_lshlrev_b32_e32 v5, v18, v17
	v_cmp_ne_u32_e32 vcc_lo, 0, v2
	v_lshrrev_b32_e32 v18, 8, v3
	s_wait_alu 0xfffd
	v_cndmask_b32_e64 v2, 0, 1, vcc_lo
	v_cmp_ne_u32_e32 vcc_lo, v5, v4
	v_mul_f64_e32 v[4:5], s[8:9], v[10:11]
	s_delay_alu instid0(VALU_DEP_3)
	v_and_or_b32 v2, 0xffe, v18, v2
	s_wait_alu 0xfffd
	v_cndmask_b32_e64 v23, 0, 1, vcc_lo
	v_cmp_ne_u32_e32 vcc_lo, 0, v16
	v_sub_nc_u32_e32 v18, 0x3f1, v21
	v_cvt_f64_f32_e32 v[10:11], v12
	s_delay_alu instid0(VALU_DEP_4)
	v_or_b32_e32 v16, v17, v23
	s_wait_alu 0xfffd
	v_cndmask_b32_e64 v12, 0, 1, vcc_lo
	v_cmp_gt_i32_e32 vcc_lo, 31, v15
	v_lshl_or_b32 v17, v20, 12, v0
	v_or_b32_e32 v23, 0x1000, v2
	v_med3_i32 v18, v18, 0, 13
	v_lshl_or_b32 v12, v12, 9, 0x7c00
	s_wait_alu 0xfffd
	v_cndmask_b32_e32 v22, 0x7c00, v22, vcc_lo
	v_cmp_gt_i32_e32 vcc_lo, 1, v20
	s_wait_alu 0xfffd
	v_cndmask_b32_e32 v16, v17, v16, vcc_lo
	v_lshrrev_b32_e32 v17, v18, v23
	v_cmp_eq_u32_e32 vcc_lo, 0x40f, v15
	s_delay_alu instid0(VALU_DEP_3) | instskip(NEXT) | instid1(VALU_DEP_3)
	v_and_b32_e32 v15, 7, v16
	v_lshlrev_b32_e32 v18, v18, v17
	s_wait_alu 0xfffd
	v_cndmask_b32_e32 v12, v22, v12, vcc_lo
	s_delay_alu instid0(VALU_DEP_3) | instskip(NEXT) | instid1(VALU_DEP_3)
	v_cmp_lt_i32_e32 vcc_lo, 5, v15
	v_cmp_ne_u32_e64 s0, v18, v23
	s_delay_alu instid0(VALU_DEP_3) | instskip(SKIP_2) | instid1(VALU_DEP_3)
	v_and_or_b32 v12, 0x8000, v7, v12
	v_lshrrev_b32_e32 v18, 16, v13
	s_wait_alu 0xf1ff
	v_cndmask_b32_e64 v7, 0, 1, s0
	v_cmp_eq_u32_e64 s0, 3, v15
	v_and_b32_e32 v15, 0xffff, v6
	v_lshrrev_b32_e32 v6, 2, v16
	v_lshl_or_b32 v16, v14, 12, v2
	v_or_b32_e32 v7, v17, v7
	s_or_b32 vcc_lo, s0, vcc_lo
	v_and_or_b32 v4, 0x1ff, v5, v4
	s_wait_alu 0xfffe
	v_add_co_ci_u32_e32 v17, vcc_lo, 0, v6, vcc_lo
	v_cmp_ne_u32_e32 vcc_lo, 0, v0
	v_lshrrev_b32_e32 v19, 8, v5
	v_bfe_u32 v21, v5, 20, 11
	v_lshrrev_b32_e32 v5, 16, v5
	s_wait_alu 0xfffd
	v_cndmask_b32_e64 v0, 0, 1, vcc_lo
	v_cmp_gt_i32_e32 vcc_lo, 1, v14
	s_delay_alu instid0(VALU_DEP_2)
	v_lshl_or_b32 v0, v0, 9, 0x7c00
	s_wait_alu 0xfffd
	v_cndmask_b32_e32 v16, v16, v7, vcc_lo
	v_cmp_gt_i32_e32 vcc_lo, 31, v20
	v_mul_f64_e32 v[6:7], s[8:9], v[10:11]
	v_mul_f16_e32 v11, v51, v18
	s_wait_alu 0xfffd
	v_cndmask_b32_e32 v10, 0x7c00, v17, vcc_lo
	v_cmp_ne_u32_e32 vcc_lo, 0, v4
	s_delay_alu instid0(VALU_DEP_3)
	v_fmac_f16_e32 v11, v50, v13
	v_and_b32_e32 v17, 7, v16
	v_lshrrev_b32_e32 v16, 2, v16
	s_wait_alu 0xfffd
	v_cndmask_b32_e64 v4, 0, 1, vcc_lo
	v_cmp_eq_u32_e32 vcc_lo, 0x40f, v20
	v_cmp_eq_u32_e64 s0, 3, v17
	s_delay_alu instid0(VALU_DEP_3)
	v_and_or_b32 v4, 0xffe, v19, v4
	s_wait_alu 0xfffd
	v_cndmask_b32_e32 v0, v10, v0, vcc_lo
	v_cvt_f32_f16_e32 v10, v11
	v_cmp_lt_i32_e32 vcc_lo, 5, v17
	v_sub_nc_u32_e32 v19, 0x3f1, v21
	v_or_b32_e32 v17, 0x1000, v4
	v_and_or_b32 v22, 0x8000, v1, v0
	v_cvt_f64_f32_e32 v[10:11], v10
	s_or_b32 vcc_lo, s0, vcc_lo
	v_med3_i32 v19, v19, 0, 13
	s_wait_alu 0xfffe
	v_add_co_ci_u32_e32 v16, vcc_lo, 0, v16, vcc_lo
	v_cmp_ne_u32_e32 vcc_lo, 0, v2
	v_mul_f16_e32 v0, v51, v13
	v_lshrrev_b32_e32 v20, v19, v17
	s_wait_alu 0xfffd
	v_cndmask_b32_e64 v2, 0, 1, vcc_lo
	v_cmp_gt_i32_e32 vcc_lo, 31, v14
	s_delay_alu instid0(VALU_DEP_3)
	v_lshlrev_b32_e32 v1, v19, v20
	v_fma_f16 v0, v50, v18, -v0
	v_add_nc_u32_e32 v18, 0x1400, v43
	v_lshl_or_b32 v2, v2, 9, 0x7c00
	s_wait_alu 0xfffd
	v_cndmask_b32_e32 v16, 0x7c00, v16, vcc_lo
	v_cmp_eq_u32_e32 vcc_lo, 0x40f, v14
	v_cvt_f32_f16_e32 v0, v0
	v_lshrrev_b32_e32 v14, 16, v3
	s_wait_alu 0xfffd
	v_cndmask_b32_e32 v13, v16, v2, vcc_lo
	v_and_or_b32 v2, 0x1ff, v7, v6
	v_cmp_ne_u32_e32 vcc_lo, v1, v17
	v_cvt_f64_f32_e32 v[0:1], v0
	v_add_nc_u32_e32 v6, 0xfffffc10, v21
	v_lshrrev_b32_e32 v16, 8, v7
	v_bfe_u32 v17, v7, 20, 11
	s_wait_alu 0xfffd
	v_cndmask_b32_e64 v3, 0, 1, vcc_lo
	v_cmp_ne_u32_e32 vcc_lo, 0, v2
	v_lshl_or_b32 v21, v12, 16, v15
	v_and_or_b32 v12, 0x8000, v14, v13
	v_and_b32_e32 v13, 0xffff, v22
	v_or_b32_e32 v19, v20, v3
	s_wait_alu 0xfffd
	v_cndmask_b32_e64 v2, 0, 1, vcc_lo
	v_lshl_or_b32 v20, v6, 12, v4
	v_cmp_gt_i32_e32 vcc_lo, 1, v6
	v_mul_f64_e32 v[10:11], s[8:9], v[10:11]
	v_lshl_or_b32 v22, v12, 16, v13
	v_and_or_b32 v16, 0xffe, v16, v2
	ds_load_2addr_b32 v[2:3], v18 offset0:148 offset1:250
	v_sub_nc_u32_e32 v18, 0x3f1, v17
	s_wait_alu 0xfffd
	v_cndmask_b32_e32 v19, v20, v19, vcc_lo
	v_add_co_u32 v8, vcc_lo, v8, s2
	v_or_b32_e32 v20, 0x1000, v16
	v_med3_i32 v18, v18, 0, 13
	s_delay_alu instid0(VALU_DEP_4)
	v_and_b32_e32 v14, 7, v19
	s_wait_alu 0xfffd
	v_add_co_ci_u32_e32 v9, vcc_lo, s3, v9, vcc_lo
	v_lshrrev_b32_e32 v13, 2, v19
	v_lshrrev_b32_e32 v15, v18, v20
	v_cmp_lt_i32_e32 vcc_lo, 5, v14
	v_cmp_eq_u32_e64 s0, 3, v14
	v_add_nc_u32_e32 v17, 0xfffffc10, v17
	s_delay_alu instid0(VALU_DEP_4) | instskip(NEXT) | instid1(VALU_DEP_3)
	v_lshlrev_b32_e32 v12, v18, v15
	s_or_b32 vcc_lo, s0, vcc_lo
	s_wait_dscnt 0x0
	v_lshrrev_b32_e32 v18, 16, v2
	s_delay_alu instid0(VALU_DEP_2)
	v_cmp_ne_u32_e64 s1, v12, v20
	s_wait_alu 0xfffe
	v_add_co_ci_u32_e32 v13, vcc_lo, 0, v13, vcc_lo
	v_cmp_ne_u32_e32 vcc_lo, 0, v4
	v_mul_f16_e32 v14, v49, v18
	s_wait_alu 0xf1ff
	v_cndmask_b32_e64 v12, 0, 1, s1
	v_mul_f64_e32 v[0:1], s[8:9], v[0:1]
	s_wait_alu 0xfffd
	v_cndmask_b32_e64 v4, 0, 1, vcc_lo
	v_fmac_f16_e32 v14, v48, v2
	v_or_b32_e32 v12, v15, v12
	v_lshl_or_b32 v15, v17, 12, v16
	v_cmp_gt_i32_e32 vcc_lo, 1, v17
	v_lshl_or_b32 v4, v4, 9, 0x7c00
	v_and_or_b32 v10, 0x1ff, v11, v10
	v_mul_f16_e32 v2, v49, v2
	s_wait_alu 0xfffd
	v_cndmask_b32_e32 v19, v15, v12, vcc_lo
	v_cvt_f32_f16_e32 v12, v14
	v_cmp_gt_i32_e32 vcc_lo, 31, v6
	v_cmp_ne_u32_e64 s0, 0, v10
	v_lshrrev_b32_e32 v10, 8, v11
	v_and_b32_e32 v23, 7, v19
	v_lshrrev_b32_e32 v19, 2, v19
	s_wait_alu 0xfffd
	v_cndmask_b32_e32 v20, 0x7c00, v13, vcc_lo
	v_cvt_f64_f32_e32 v[12:13], v12
	v_add_co_u32 v14, vcc_lo, v8, s2
	s_wait_alu 0xfffd
	v_add_co_ci_u32_e32 v15, vcc_lo, s3, v9, vcc_lo
	v_cmp_eq_u32_e32 vcc_lo, 0x40f, v6
	s_wait_alu 0xf1ff
	v_cndmask_b32_e64 v6, 0, 1, s0
	v_cmp_eq_u32_e64 s0, 3, v23
	v_fma_f16 v2, v48, v18, -v2
	global_store_b32 v[8:9], v21, off
	global_store_b32 v[14:15], v22, off
	s_wait_alu 0xfffd
	v_cndmask_b32_e32 v4, v20, v4, vcc_lo
	v_cmp_lt_i32_e32 vcc_lo, 5, v23
	v_bfe_u32 v20, v11, 20, 11
	v_and_or_b32 v10, 0xffe, v10, v6
	v_cvt_f32_f16_e32 v2, v2
	v_and_or_b32 v24, 0x8000, v5, v4
	s_or_b32 vcc_lo, s0, vcc_lo
	v_sub_nc_u32_e32 v6, 0x3f1, v20
	s_wait_alu 0xfffe
	v_add_co_ci_u32_e32 v19, vcc_lo, 0, v19, vcc_lo
	v_cmp_ne_u32_e32 vcc_lo, 0, v16
	v_or_b32_e32 v23, 0x1000, v10
	v_med3_i32 v6, v6, 0, 13
	v_and_or_b32 v0, 0x1ff, v1, v0
	v_add_nc_u32_e32 v18, 0xfffffc10, v20
	s_wait_alu 0xfffd
	v_cndmask_b32_e64 v16, 0, 1, vcc_lo
	v_cmp_gt_i32_e32 vcc_lo, 31, v17
	v_lshrrev_b32_e32 v25, v6, v23
	v_lshrrev_b32_e32 v11, 16, v11
	v_cmp_eq_u32_e64 s1, 0x40f, v18
	v_lshl_or_b32 v16, v16, 9, 0x7c00
	s_wait_alu 0xfffd
	v_cndmask_b32_e32 v19, 0x7c00, v19, vcc_lo
	v_cmp_eq_u32_e32 vcc_lo, 0x40f, v17
	v_lshlrev_b32_e32 v6, v6, v25
	v_lshrrev_b32_e32 v17, 16, v7
	v_lshrrev_b32_e32 v7, 8, v1
	s_wait_alu 0xfffd
	v_cndmask_b32_e32 v16, v19, v16, vcc_lo
	v_cmp_ne_u32_e32 vcc_lo, 0, v0
	v_bfe_u32 v19, v1, 20, 11
	v_mul_f64_e32 v[4:5], s[8:9], v[12:13]
	v_lshl_or_b32 v13, v18, 12, v10
	v_lshrrev_b32_e32 v1, 16, v1
	s_wait_alu 0xfffd
	v_cndmask_b32_e64 v0, 0, 1, vcc_lo
	v_cmp_ne_u32_e32 vcc_lo, v6, v23
	s_delay_alu instid0(VALU_DEP_2)
	v_and_or_b32 v0, 0xffe, v7, v0
	s_wait_alu 0xfffd
	v_cndmask_b32_e64 v6, 0, 1, vcc_lo
	v_sub_nc_u32_e32 v7, 0x3f1, v19
	v_cmp_gt_i32_e32 vcc_lo, 1, v18
	v_or_b32_e32 v20, 0x1000, v0
	s_delay_alu instid0(VALU_DEP_4) | instskip(NEXT) | instid1(VALU_DEP_4)
	v_or_b32_e32 v12, v25, v6
	v_med3_i32 v23, v7, 0, 13
	v_cvt_f64_f32_e32 v[6:7], v2
	v_and_or_b32 v2, 0x8000, v17, v16
	v_and_b32_e32 v16, 0xffff, v24
	s_wait_alu 0xfffd
	v_cndmask_b32_e32 v12, v13, v12, vcc_lo
	v_lshrrev_b32_e32 v13, v23, v20
	v_add_co_u32 v8, vcc_lo, v14, s2
	v_lshl_or_b32 v16, v2, 16, v16
	s_delay_alu instid0(VALU_DEP_4) | instskip(NEXT) | instid1(VALU_DEP_4)
	v_and_b32_e32 v2, 7, v12
	v_lshlrev_b32_e32 v17, v23, v13
	v_lshrrev_b32_e32 v14, 16, v3
	s_wait_alu 0xfffd
	v_add_co_ci_u32_e32 v9, vcc_lo, s3, v15, vcc_lo
	v_cmp_lt_i32_e32 vcc_lo, 5, v2
	v_cmp_ne_u32_e64 s0, v17, v20
	v_add_nc_u32_e32 v17, 0xfffffc10, v19
	v_mul_f16_e32 v19, v47, v14
	s_wait_alu 0xf1ff
	s_delay_alu instid0(VALU_DEP_3)
	v_cndmask_b32_e64 v15, 0, 1, s0
	v_cmp_eq_u32_e64 s0, 3, v2
	v_lshrrev_b32_e32 v2, 2, v12
	v_fmac_f16_e32 v19, v45, v3
	v_and_or_b32 v4, 0x1ff, v5, v4
	v_or_b32_e32 v12, v13, v15
	s_or_b32 vcc_lo, s0, vcc_lo
	v_lshl_or_b32 v13, v17, 12, v0
	s_wait_alu 0xfffe
	v_add_co_ci_u32_e32 v2, vcc_lo, 0, v2, vcc_lo
	v_cmp_gt_i32_e32 vcc_lo, 1, v17
	v_cvt_f32_f16_e32 v15, v19
	v_lshrrev_b32_e32 v20, 8, v5
	s_wait_alu 0xfffd
	v_cndmask_b32_e32 v19, v13, v12, vcc_lo
	v_cmp_ne_u32_e32 vcc_lo, 0, v4
	v_cvt_f64_f32_e32 v[12:13], v15
	v_bfe_u32 v15, v5, 20, 11
	v_mul_f64_e32 v[6:7], s[8:9], v[6:7]
	v_and_b32_e32 v21, 7, v19
	s_wait_alu 0xfffd
	v_cndmask_b32_e64 v4, 0, 1, vcc_lo
	v_cmp_ne_u32_e32 vcc_lo, 0, v10
	v_lshrrev_b32_e32 v19, 2, v19
	v_cmp_eq_u32_e64 s0, 3, v21
	s_delay_alu instid0(VALU_DEP_4)
	v_and_or_b32 v4, 0xffe, v20, v4
	s_wait_alu 0xfffd
	v_cndmask_b32_e64 v10, 0, 1, vcc_lo
	v_cmp_gt_i32_e32 vcc_lo, 31, v18
	v_sub_nc_u32_e32 v20, 0x3f1, v15
	v_add_nc_u32_e32 v15, 0xfffffc10, v15
	v_or_b32_e32 v22, 0x1000, v4
	v_lshl_or_b32 v10, v10, 9, 0x7c00
	s_wait_alu 0xfffd
	v_cndmask_b32_e32 v2, 0x7c00, v2, vcc_lo
	v_cmp_lt_i32_e32 vcc_lo, 5, v21
	v_med3_i32 v20, v20, 0, 13
	s_delay_alu instid0(VALU_DEP_3) | instskip(SKIP_1) | instid1(VALU_DEP_2)
	v_cndmask_b32_e64 v2, v2, v10, s1
	s_or_b32 vcc_lo, s0, vcc_lo
	v_lshrrev_b32_e32 v10, v20, v22
	s_wait_alu 0xfffe
	v_add_co_ci_u32_e32 v18, vcc_lo, 0, v19, vcc_lo
	v_cmp_ne_u32_e32 vcc_lo, 0, v0
	v_and_or_b32 v11, 0x8000, v11, v2
	v_lshlrev_b32_e32 v19, v20, v10
	s_wait_alu 0xfffd
	v_cndmask_b32_e64 v0, 0, 1, vcc_lo
	v_cmp_gt_i32_e32 vcc_lo, 31, v17
	v_and_b32_e32 v11, 0xffff, v11
	s_delay_alu instid0(VALU_DEP_3)
	v_lshl_or_b32 v0, v0, 9, 0x7c00
	s_wait_alu 0xfffd
	v_cndmask_b32_e32 v18, 0x7c00, v18, vcc_lo
	v_cmp_ne_u32_e32 vcc_lo, v19, v22
	v_and_or_b32 v6, 0x1ff, v7, v6
	s_wait_alu 0xfffd
	v_cndmask_b32_e64 v2, 0, 1, vcc_lo
	v_cmp_eq_u32_e32 vcc_lo, 0x40f, v17
	ds_load_b32 v17, v43 offset:6528
	v_or_b32_e32 v10, v10, v2
	s_wait_alu 0xfffd
	v_cndmask_b32_e32 v0, v18, v0, vcc_lo
	v_mul_f16_e32 v18, v47, v3
	v_mul_f64_e32 v[2:3], s[8:9], v[12:13]
	v_lshl_or_b32 v12, v15, 12, v4
	v_cmp_gt_i32_e32 vcc_lo, 1, v15
	s_delay_alu instid0(VALU_DEP_4)
	v_fma_f16 v13, v45, v14, -v18
	v_bfe_u32 v14, v7, 20, 11
	v_and_or_b32 v18, 0x8000, v1, v0
	s_wait_alu 0xfffd
	v_cndmask_b32_e32 v10, v12, v10, vcc_lo
	v_cmp_ne_u32_e32 vcc_lo, 0, v6
	v_cvt_f32_f16_e32 v12, v13
	v_lshrrev_b32_e32 v13, 8, v7
	v_lshl_or_b32 v18, v18, 16, v11
	v_and_b32_e32 v19, 7, v10
	s_wait_alu 0xfffd
	v_cndmask_b32_e64 v6, 0, 1, vcc_lo
	v_cvt_f64_f32_e32 v[0:1], v12
	v_sub_nc_u32_e32 v12, 0x3f1, v14
	v_lshrrev_b32_e32 v10, 2, v10
	v_cmp_lt_i32_e32 vcc_lo, 5, v19
	v_and_or_b32 v6, 0xffe, v13, v6
	s_wait_dscnt 0x0
	v_lshrrev_b32_e32 v13, 16, v17
	v_cmp_eq_u32_e64 s0, 3, v19
	v_med3_i32 v12, v12, 0, 13
	v_add_nc_u32_e32 v14, 0xfffffc10, v14
	v_or_b32_e32 v20, 0x1000, v6
	v_mul_f16_e32 v21, v46, v13
	s_or_b32 vcc_lo, s0, vcc_lo
	s_wait_alu 0xfffe
	v_add_co_ci_u32_e32 v10, vcc_lo, 0, v10, vcc_lo
	v_lshrrev_b32_e32 v19, v12, v20
	v_fmac_f16_e32 v21, v44, v17
	v_cmp_ne_u32_e32 vcc_lo, 0, v4
	v_mul_f16_e32 v17, v46, v17
	s_delay_alu instid0(VALU_DEP_4) | instskip(NEXT) | instid1(VALU_DEP_4)
	v_lshlrev_b32_e32 v12, v12, v19
	v_cvt_f32_f16_e32 v11, v21
	s_wait_alu 0xfffd
	v_cndmask_b32_e64 v4, 0, 1, vcc_lo
	v_cmp_gt_i32_e32 vcc_lo, 31, v15
	v_and_or_b32 v2, 0x1ff, v3, v2
	v_fma_f16 v13, v44, v13, -v17
	v_lshl_or_b32 v17, v14, 12, v6
	v_lshl_or_b32 v4, v4, 9, 0x7c00
	s_wait_alu 0xfffd
	v_cndmask_b32_e32 v21, 0x7c00, v10, vcc_lo
	v_cvt_f64_f32_e32 v[10:11], v11
	v_cmp_ne_u32_e32 vcc_lo, v12, v20
	v_lshrrev_b32_e32 v20, 8, v3
	v_cvt_f32_f16_e32 v13, v13
	s_wait_alu 0xfffd
	v_cndmask_b32_e64 v12, 0, 1, vcc_lo
	v_cmp_ne_u32_e32 vcc_lo, 0, v2
	v_mul_f64_e32 v[0:1], s[8:9], v[0:1]
	s_delay_alu instid0(VALU_DEP_3)
	v_or_b32_e32 v12, v19, v12
	s_wait_alu 0xfffd
	v_cndmask_b32_e64 v2, 0, 1, vcc_lo
	v_bfe_u32 v19, v3, 20, 11
	v_cmp_gt_i32_e32 vcc_lo, 1, v14
	v_lshrrev_b32_e32 v3, 16, v3
	s_delay_alu instid0(VALU_DEP_4) | instskip(NEXT) | instid1(VALU_DEP_4)
	v_and_or_b32 v2, 0xffe, v20, v2
	v_sub_nc_u32_e32 v20, 0x3f1, v19
	s_wait_alu 0xfffd
	v_cndmask_b32_e32 v17, v17, v12, vcc_lo
	v_cmp_eq_u32_e32 vcc_lo, 0x40f, v15
	v_cvt_f64_f32_e32 v[12:13], v13
	v_or_b32_e32 v22, 0x1000, v2
	v_med3_i32 v20, v20, 0, 13
	v_and_b32_e32 v23, 7, v17
	s_wait_alu 0xfffd
	v_cndmask_b32_e32 v15, v21, v4, vcc_lo
	v_add_co_u32 v4, vcc_lo, v8, s2
	v_lshrrev_b32_e32 v24, v20, v22
	v_lshrrev_b32_e32 v21, 16, v5
	s_wait_alu 0xfffd
	v_add_co_ci_u32_e32 v5, vcc_lo, s3, v9, vcc_lo
	v_cmp_lt_i32_e32 vcc_lo, 5, v23
	v_cmp_eq_u32_e64 s0, 3, v23
	v_lshrrev_b32_e32 v17, 2, v17
	v_lshlrev_b32_e32 v20, v20, v24
	v_add_nc_u32_e32 v19, 0xfffffc10, v19
	v_and_or_b32 v15, 0x8000, v21, v15
	s_or_b32 vcc_lo, s0, vcc_lo
	v_mul_f64_e32 v[10:11], s[8:9], v[10:11]
	s_wait_alu 0xfffe
	v_add_co_ci_u32_e32 v17, vcc_lo, 0, v17, vcc_lo
	v_cmp_ne_u32_e64 s1, v20, v22
	v_cmp_ne_u32_e32 vcc_lo, 0, v6
	v_lshl_or_b32 v21, v19, 12, v2
	s_wait_alu 0xf1ff
	s_delay_alu instid0(VALU_DEP_3)
	v_cndmask_b32_e64 v20, 0, 1, s1
	s_wait_alu 0xfffd
	v_cndmask_b32_e64 v6, 0, 1, vcc_lo
	v_cmp_gt_i32_e32 vcc_lo, 31, v14
	v_and_or_b32 v0, 0x1ff, v1, v0
	v_lshrrev_b32_e32 v22, 8, v1
	v_or_b32_e32 v20, v24, v20
	v_lshl_or_b32 v6, v6, 9, 0x7c00
	s_wait_alu 0xfffd
	v_cndmask_b32_e32 v17, 0x7c00, v17, vcc_lo
	v_cmp_gt_i32_e32 vcc_lo, 1, v19
	s_wait_alu 0xfffd
	v_cndmask_b32_e32 v20, v21, v20, vcc_lo
	v_cmp_eq_u32_e32 vcc_lo, 0x40f, v14
	s_wait_alu 0xfffd
	s_delay_alu instid0(VALU_DEP_2)
	v_dual_cndmask_b32 v14, v17, v6 :: v_dual_and_b32 v21, 7, v20
	v_lshrrev_b32_e32 v17, 16, v7
	v_cmp_ne_u32_e32 vcc_lo, 0, v0
	v_mul_f64_e32 v[6:7], s[8:9], v[12:13]
	v_bfe_u32 v12, v1, 20, 11
	v_cmp_eq_u32_e64 s0, 3, v21
	v_and_or_b32 v13, 0x8000, v17, v14
	v_and_b32_e32 v14, 0xffff, v15
	s_wait_alu 0xfffd
	v_cndmask_b32_e64 v0, 0, 1, vcc_lo
	v_cmp_lt_i32_e32 vcc_lo, 5, v21
	v_sub_nc_u32_e32 v15, 0x3f1, v12
	v_and_or_b32 v10, 0x1ff, v11, v10
	v_lshl_or_b32 v13, v13, 16, v14
	v_lshrrev_b32_e32 v14, 2, v20
	v_and_or_b32 v0, 0xffe, v22, v0
	s_or_b32 vcc_lo, s0, vcc_lo
	v_med3_i32 v15, v15, 0, 13
	v_lshrrev_b32_e32 v21, 8, v11
	s_wait_alu 0xfffe
	v_add_co_ci_u32_e32 v14, vcc_lo, 0, v14, vcc_lo
	v_or_b32_e32 v17, 0x1000, v0
	v_cmp_ne_u32_e32 vcc_lo, 0, v2
	v_bfe_u32 v22, v11, 20, 11
	v_add_nc_u32_e32 v12, 0xfffffc10, v12
	v_lshrrev_b32_e32 v1, 16, v1
	v_lshrrev_b32_e32 v20, v15, v17
	s_wait_alu 0xfffd
	v_cndmask_b32_e64 v2, 0, 1, vcc_lo
	v_cmp_gt_i32_e32 vcc_lo, 31, v19
	v_lshrrev_b32_e32 v11, 16, v11
	v_lshlrev_b32_e32 v15, v15, v20
	s_delay_alu instid0(VALU_DEP_4)
	v_lshl_or_b32 v2, v2, 9, 0x7c00
	s_wait_alu 0xfffd
	v_cndmask_b32_e32 v14, 0x7c00, v14, vcc_lo
	v_cmp_ne_u32_e32 vcc_lo, 0, v10
	s_wait_alu 0xfffd
	v_cndmask_b32_e64 v10, 0, 1, vcc_lo
	v_cmp_ne_u32_e32 vcc_lo, v15, v17
	v_sub_nc_u32_e32 v17, 0x3f1, v22
	v_and_or_b32 v6, 0x1ff, v7, v6
	s_delay_alu instid0(VALU_DEP_4)
	v_and_or_b32 v10, 0xffe, v21, v10
	s_wait_alu 0xfffd
	v_cndmask_b32_e64 v15, 0, 1, vcc_lo
	v_cmp_eq_u32_e32 vcc_lo, 0x40f, v19
	v_med3_i32 v17, v17, 0, 13
	v_bfe_u32 v21, v7, 20, 11
	v_or_b32_e32 v19, 0x1000, v10
	s_wait_alu 0xfffd
	v_cndmask_b32_e32 v2, v14, v2, vcc_lo
	v_or_b32_e32 v14, v20, v15
	v_lshl_or_b32 v15, v12, 12, v0
	v_cmp_gt_i32_e32 vcc_lo, 1, v12
	v_lshrrev_b32_e32 v20, 8, v7
	v_and_or_b32 v2, 0x8000, v3, v2
	s_wait_alu 0xfffd
	v_cndmask_b32_e32 v14, v15, v14, vcc_lo
	v_lshrrev_b32_e32 v15, v17, v19
	v_cmp_ne_u32_e32 vcc_lo, 0, v6
	v_and_b32_e32 v2, 0xffff, v2
	s_delay_alu instid0(VALU_DEP_4) | instskip(NEXT) | instid1(VALU_DEP_4)
	v_and_b32_e32 v23, 7, v14
	v_lshlrev_b32_e32 v17, v17, v15
	s_wait_alu 0xfffd
	v_cndmask_b32_e64 v6, 0, 1, vcc_lo
	v_lshrrev_b32_e32 v14, 2, v14
	v_cmp_lt_i32_e32 vcc_lo, 5, v23
	v_cmp_ne_u32_e64 s0, v17, v19
	s_delay_alu instid0(VALU_DEP_4)
	v_and_or_b32 v3, 0xffe, v20, v6
	v_sub_nc_u32_e32 v6, 0x3f1, v21
	v_add_nc_u32_e32 v20, 0xfffffc10, v22
	s_wait_alu 0xf1ff
	v_cndmask_b32_e64 v17, 0, 1, s0
	v_cmp_eq_u32_e64 s0, 3, v23
	v_or_b32_e32 v19, 0x1000, v3
	v_med3_i32 v6, v6, 0, 13
	v_lshl_or_b32 v22, v20, 12, v10
	v_or_b32_e32 v15, v15, v17
	s_or_b32 vcc_lo, s0, vcc_lo
	s_wait_alu 0xfffe
	v_add_co_ci_u32_e32 v14, vcc_lo, 0, v14, vcc_lo
	v_lshrrev_b32_e32 v17, v6, v19
	v_cmp_gt_i32_e32 vcc_lo, 1, v20
	s_delay_alu instid0(VALU_DEP_2)
	v_lshlrev_b32_e32 v6, v6, v17
	s_wait_alu 0xfffd
	v_cndmask_b32_e32 v15, v22, v15, vcc_lo
	v_cmp_ne_u32_e32 vcc_lo, 0, v0
	s_wait_alu 0xfffd
	v_cndmask_b32_e64 v0, 0, 1, vcc_lo
	v_cmp_ne_u32_e32 vcc_lo, v6, v19
	v_add_nc_u32_e32 v19, 0xfffffc10, v21
	v_and_b32_e32 v21, 7, v15
	s_delay_alu instid0(VALU_DEP_4)
	v_lshl_or_b32 v0, v0, 9, 0x7c00
	s_wait_alu 0xfffd
	v_cndmask_b32_e64 v6, 0, 1, vcc_lo
	v_cmp_gt_i32_e32 vcc_lo, 31, v12
	v_cmp_gt_i32_e64 s1, 1, v19
	v_cmp_eq_u32_e64 s0, 3, v21
	s_delay_alu instid0(VALU_DEP_4)
	v_or_b32_e32 v6, v17, v6
	v_lshl_or_b32 v17, v19, 12, v3
	s_wait_alu 0xfffd
	v_cndmask_b32_e32 v14, 0x7c00, v14, vcc_lo
	v_cmp_lt_i32_e32 vcc_lo, 5, v21
	s_wait_alu 0xf1ff
	v_cndmask_b32_e64 v6, v17, v6, s1
	v_cmp_eq_u32_e64 s1, 0x40f, v12
	v_lshrrev_b32_e32 v12, 2, v15
	s_or_b32 vcc_lo, s0, vcc_lo
	s_delay_alu instid0(VALU_DEP_2) | instskip(SKIP_1) | instid1(VALU_DEP_2)
	v_cndmask_b32_e64 v0, v14, v0, s1
	s_wait_alu 0xfffe
	v_add_co_ci_u32_e32 v12, vcc_lo, 0, v12, vcc_lo
	v_and_b32_e32 v14, 7, v6
	v_cmp_ne_u32_e32 vcc_lo, 0, v10
	v_lshrrev_b32_e32 v6, 2, v6
	v_cmp_gt_i32_e64 s1, 31, v20
	s_delay_alu instid0(VALU_DEP_4)
	v_cmp_eq_u32_e64 s0, 3, v14
	s_wait_alu 0xfffd
	v_cndmask_b32_e64 v10, 0, 1, vcc_lo
	v_cmp_lt_i32_e32 vcc_lo, 5, v14
	s_wait_alu 0xf1ff
	v_cndmask_b32_e64 v12, 0x7c00, v12, s1
	s_delay_alu instid0(VALU_DEP_3)
	v_lshl_or_b32 v10, v10, 9, 0x7c00
	s_or_b32 vcc_lo, s0, vcc_lo
	s_wait_alu 0xfffe
	v_add_co_ci_u32_e32 v6, vcc_lo, 0, v6, vcc_lo
	v_cmp_ne_u32_e32 vcc_lo, 0, v3
	s_wait_alu 0xfffd
	v_cndmask_b32_e64 v3, 0, 1, vcc_lo
	v_cmp_eq_u32_e32 vcc_lo, 0x40f, v20
	s_delay_alu instid0(VALU_DEP_2) | instskip(SKIP_4) | instid1(VALU_DEP_3)
	v_lshl_or_b32 v3, v3, 9, 0x7c00
	s_wait_alu 0xfffd
	v_cndmask_b32_e32 v10, v12, v10, vcc_lo
	v_cmp_gt_i32_e32 vcc_lo, 31, v19
	v_and_or_b32 v12, 0x8000, v1, v0
	v_and_or_b32 v10, 0x8000, v11, v10
	s_wait_alu 0xfffd
	v_cndmask_b32_e32 v6, 0x7c00, v6, vcc_lo
	v_cmp_eq_u32_e32 vcc_lo, 0x40f, v19
	v_lshl_or_b32 v11, v12, 16, v2
	s_wait_alu 0xfffd
	s_delay_alu instid0(VALU_DEP_3) | instskip(SKIP_4) | instid1(VALU_DEP_3)
	v_cndmask_b32_e32 v3, v6, v3, vcc_lo
	v_lshrrev_b32_e32 v6, 16, v7
	v_add_co_u32 v0, vcc_lo, v4, s2
	s_wait_alu 0xfffd
	v_add_co_ci_u32_e32 v1, vcc_lo, s3, v5, vcc_lo
	v_and_or_b32 v6, 0x8000, v6, v3
	v_and_b32_e32 v7, 0xffff, v10
	v_add_co_u32 v2, vcc_lo, v0, s2
	s_wait_alu 0xfffd
	v_add_co_ci_u32_e32 v3, vcc_lo, s3, v1, vcc_lo
	s_delay_alu instid0(VALU_DEP_3) | instskip(NEXT) | instid1(VALU_DEP_3)
	v_lshl_or_b32 v10, v6, 16, v7
	v_add_co_u32 v6, vcc_lo, v2, s2
	s_wait_alu 0xfffd
	s_delay_alu instid0(VALU_DEP_3)
	v_add_co_ci_u32_e32 v7, vcc_lo, s3, v3, vcc_lo
	global_store_b32 v[8:9], v16, off
	global_store_b32 v[4:5], v18, off
	;; [unrolled: 1-line block ×5, first 2 shown]
.LBB0_10:
	s_nop 0
	s_sendmsg sendmsg(MSG_DEALLOC_VGPRS)
	s_endpgm
	.section	.rodata,"a",@progbits
	.p2align	6, 0x0
	.amdhsa_kernel bluestein_single_fwd_len1734_dim1_half_op_CI_CI
		.amdhsa_group_segment_fixed_size 6936
		.amdhsa_private_segment_fixed_size 0
		.amdhsa_kernarg_size 104
		.amdhsa_user_sgpr_count 2
		.amdhsa_user_sgpr_dispatch_ptr 0
		.amdhsa_user_sgpr_queue_ptr 0
		.amdhsa_user_sgpr_kernarg_segment_ptr 1
		.amdhsa_user_sgpr_dispatch_id 0
		.amdhsa_user_sgpr_private_segment_size 0
		.amdhsa_wavefront_size32 1
		.amdhsa_uses_dynamic_stack 0
		.amdhsa_enable_private_segment 0
		.amdhsa_system_sgpr_workgroup_id_x 1
		.amdhsa_system_sgpr_workgroup_id_y 0
		.amdhsa_system_sgpr_workgroup_id_z 0
		.amdhsa_system_sgpr_workgroup_info 0
		.amdhsa_system_vgpr_workitem_id 0
		.amdhsa_next_free_vgpr 238
		.amdhsa_next_free_sgpr 20
		.amdhsa_reserve_vcc 1
		.amdhsa_float_round_mode_32 0
		.amdhsa_float_round_mode_16_64 0
		.amdhsa_float_denorm_mode_32 3
		.amdhsa_float_denorm_mode_16_64 3
		.amdhsa_fp16_overflow 0
		.amdhsa_workgroup_processor_mode 1
		.amdhsa_memory_ordered 1
		.amdhsa_forward_progress 0
		.amdhsa_round_robin_scheduling 0
		.amdhsa_exception_fp_ieee_invalid_op 0
		.amdhsa_exception_fp_denorm_src 0
		.amdhsa_exception_fp_ieee_div_zero 0
		.amdhsa_exception_fp_ieee_overflow 0
		.amdhsa_exception_fp_ieee_underflow 0
		.amdhsa_exception_fp_ieee_inexact 0
		.amdhsa_exception_int_div_zero 0
	.end_amdhsa_kernel
	.text
.Lfunc_end0:
	.size	bluestein_single_fwd_len1734_dim1_half_op_CI_CI, .Lfunc_end0-bluestein_single_fwd_len1734_dim1_half_op_CI_CI
                                        ; -- End function
	.section	.AMDGPU.csdata,"",@progbits
; Kernel info:
; codeLenInByte = 43916
; NumSgprs: 22
; NumVgprs: 238
; ScratchSize: 0
; MemoryBound: 0
; FloatMode: 240
; IeeeMode: 1
; LDSByteSize: 6936 bytes/workgroup (compile time only)
; SGPRBlocks: 2
; VGPRBlocks: 29
; NumSGPRsForWavesPerEU: 22
; NumVGPRsForWavesPerEU: 238
; Occupancy: 6
; WaveLimiterHint : 1
; COMPUTE_PGM_RSRC2:SCRATCH_EN: 0
; COMPUTE_PGM_RSRC2:USER_SGPR: 2
; COMPUTE_PGM_RSRC2:TRAP_HANDLER: 0
; COMPUTE_PGM_RSRC2:TGID_X_EN: 1
; COMPUTE_PGM_RSRC2:TGID_Y_EN: 0
; COMPUTE_PGM_RSRC2:TGID_Z_EN: 0
; COMPUTE_PGM_RSRC2:TIDIG_COMP_CNT: 0
	.text
	.p2alignl 7, 3214868480
	.fill 96, 4, 3214868480
	.type	__hip_cuid_6d3396bf26f1278a,@object ; @__hip_cuid_6d3396bf26f1278a
	.section	.bss,"aw",@nobits
	.globl	__hip_cuid_6d3396bf26f1278a
__hip_cuid_6d3396bf26f1278a:
	.byte	0                               ; 0x0
	.size	__hip_cuid_6d3396bf26f1278a, 1

	.ident	"AMD clang version 19.0.0git (https://github.com/RadeonOpenCompute/llvm-project roc-6.4.0 25133 c7fe45cf4b819c5991fe208aaa96edf142730f1d)"
	.section	".note.GNU-stack","",@progbits
	.addrsig
	.addrsig_sym __hip_cuid_6d3396bf26f1278a
	.amdgpu_metadata
---
amdhsa.kernels:
  - .args:
      - .actual_access:  read_only
        .address_space:  global
        .offset:         0
        .size:           8
        .value_kind:     global_buffer
      - .actual_access:  read_only
        .address_space:  global
        .offset:         8
        .size:           8
        .value_kind:     global_buffer
      - .actual_access:  read_only
        .address_space:  global
        .offset:         16
        .size:           8
        .value_kind:     global_buffer
      - .actual_access:  read_only
        .address_space:  global
        .offset:         24
        .size:           8
        .value_kind:     global_buffer
      - .actual_access:  read_only
        .address_space:  global
        .offset:         32
        .size:           8
        .value_kind:     global_buffer
      - .offset:         40
        .size:           8
        .value_kind:     by_value
      - .address_space:  global
        .offset:         48
        .size:           8
        .value_kind:     global_buffer
      - .address_space:  global
        .offset:         56
        .size:           8
        .value_kind:     global_buffer
      - .address_space:  global
        .offset:         64
        .size:           8
        .value_kind:     global_buffer
      - .address_space:  global
        .offset:         72
        .size:           8
        .value_kind:     global_buffer
      - .offset:         80
        .size:           4
        .value_kind:     by_value
      - .address_space:  global
        .offset:         88
        .size:           8
        .value_kind:     global_buffer
      - .address_space:  global
        .offset:         96
        .size:           8
        .value_kind:     global_buffer
    .group_segment_fixed_size: 6936
    .kernarg_segment_align: 8
    .kernarg_segment_size: 104
    .language:       OpenCL C
    .language_version:
      - 2
      - 0
    .max_flat_workgroup_size: 102
    .name:           bluestein_single_fwd_len1734_dim1_half_op_CI_CI
    .private_segment_fixed_size: 0
    .sgpr_count:     22
    .sgpr_spill_count: 0
    .symbol:         bluestein_single_fwd_len1734_dim1_half_op_CI_CI.kd
    .uniform_work_group_size: 1
    .uses_dynamic_stack: false
    .vgpr_count:     238
    .vgpr_spill_count: 0
    .wavefront_size: 32
    .workgroup_processor_mode: 1
amdhsa.target:   amdgcn-amd-amdhsa--gfx1201
amdhsa.version:
  - 1
  - 2
...

	.end_amdgpu_metadata
